;; amdgpu-corpus repo=ROCm/rocFFT kind=compiled arch=gfx906 opt=O3
	.text
	.amdgcn_target "amdgcn-amd-amdhsa--gfx906"
	.amdhsa_code_object_version 6
	.protected	fft_rtc_back_len1925_factors_7_11_5_5_wgs_55_tpt_55_halfLds_sp_op_CI_CI_sbrr_dirReg ; -- Begin function fft_rtc_back_len1925_factors_7_11_5_5_wgs_55_tpt_55_halfLds_sp_op_CI_CI_sbrr_dirReg
	.globl	fft_rtc_back_len1925_factors_7_11_5_5_wgs_55_tpt_55_halfLds_sp_op_CI_CI_sbrr_dirReg
	.p2align	8
	.type	fft_rtc_back_len1925_factors_7_11_5_5_wgs_55_tpt_55_halfLds_sp_op_CI_CI_sbrr_dirReg,@function
fft_rtc_back_len1925_factors_7_11_5_5_wgs_55_tpt_55_halfLds_sp_op_CI_CI_sbrr_dirReg: ; @fft_rtc_back_len1925_factors_7_11_5_5_wgs_55_tpt_55_halfLds_sp_op_CI_CI_sbrr_dirReg
; %bb.0:
	s_load_dwordx4 s[16:19], s[4:5], 0x18
	s_load_dwordx4 s[12:15], s[4:5], 0x0
	;; [unrolled: 1-line block ×3, first 2 shown]
	v_mul_u32_u24_e32 v1, 0x4a8, v0
	v_mov_b32_e32 v3, 0
	s_waitcnt lgkmcnt(0)
	s_load_dwordx2 s[20:21], s[16:17], 0x0
	s_load_dwordx2 s[2:3], s[18:19], 0x0
	v_cmp_lt_u64_e64 s[0:1], s[14:15], 2
	v_mov_b32_e32 v24, 0
	v_add_u32_sdwa v5, s6, v1 dst_sel:DWORD dst_unused:UNUSED_PAD src0_sel:DWORD src1_sel:WORD_1
	v_mov_b32_e32 v6, v3
	s_and_b64 vcc, exec, s[0:1]
	v_mov_b32_e32 v25, 0
	s_cbranch_vccnz .LBB0_8
; %bb.1:
	s_load_dwordx2 s[0:1], s[4:5], 0x10
	s_add_u32 s6, s18, 8
	s_addc_u32 s7, s19, 0
	s_add_u32 s22, s16, 8
	s_addc_u32 s23, s17, 0
	v_mov_b32_e32 v24, 0
	s_waitcnt lgkmcnt(0)
	s_add_u32 s24, s0, 8
	v_mov_b32_e32 v25, 0
	v_mov_b32_e32 v8, v24
	s_addc_u32 s25, s1, 0
	s_mov_b64 s[26:27], 1
	v_mov_b32_e32 v9, v25
.LBB0_2:                                ; =>This Inner Loop Header: Depth=1
	s_load_dwordx2 s[28:29], s[24:25], 0x0
                                        ; implicit-def: $vgpr1_vgpr2
	s_waitcnt lgkmcnt(0)
	v_or_b32_e32 v4, s29, v6
	v_cmp_ne_u64_e32 vcc, 0, v[3:4]
	s_and_saveexec_b64 s[0:1], vcc
	s_xor_b64 s[30:31], exec, s[0:1]
	s_cbranch_execz .LBB0_4
; %bb.3:                                ;   in Loop: Header=BB0_2 Depth=1
	v_cvt_f32_u32_e32 v1, s28
	v_cvt_f32_u32_e32 v2, s29
	s_sub_u32 s0, 0, s28
	s_subb_u32 s1, 0, s29
	v_mac_f32_e32 v1, 0x4f800000, v2
	v_rcp_f32_e32 v1, v1
	v_mul_f32_e32 v1, 0x5f7ffffc, v1
	v_mul_f32_e32 v2, 0x2f800000, v1
	v_trunc_f32_e32 v2, v2
	v_mac_f32_e32 v1, 0xcf800000, v2
	v_cvt_u32_f32_e32 v2, v2
	v_cvt_u32_f32_e32 v1, v1
	v_mul_lo_u32 v4, s0, v2
	v_mul_hi_u32 v7, s0, v1
	v_mul_lo_u32 v11, s1, v1
	v_mul_lo_u32 v10, s0, v1
	v_add_u32_e32 v4, v7, v4
	v_add_u32_e32 v4, v4, v11
	v_mul_hi_u32 v7, v1, v10
	v_mul_lo_u32 v11, v1, v4
	v_mul_hi_u32 v13, v1, v4
	v_mul_hi_u32 v12, v2, v10
	v_mul_lo_u32 v10, v2, v10
	v_mul_hi_u32 v14, v2, v4
	v_add_co_u32_e32 v7, vcc, v7, v11
	v_addc_co_u32_e32 v11, vcc, 0, v13, vcc
	v_mul_lo_u32 v4, v2, v4
	v_add_co_u32_e32 v7, vcc, v7, v10
	v_addc_co_u32_e32 v7, vcc, v11, v12, vcc
	v_addc_co_u32_e32 v10, vcc, 0, v14, vcc
	v_add_co_u32_e32 v4, vcc, v7, v4
	v_addc_co_u32_e32 v7, vcc, 0, v10, vcc
	v_add_co_u32_e32 v1, vcc, v1, v4
	v_addc_co_u32_e32 v2, vcc, v2, v7, vcc
	v_mul_lo_u32 v4, s0, v2
	v_mul_hi_u32 v7, s0, v1
	v_mul_lo_u32 v10, s1, v1
	v_mul_lo_u32 v11, s0, v1
	v_add_u32_e32 v4, v7, v4
	v_add_u32_e32 v4, v4, v10
	v_mul_lo_u32 v12, v1, v4
	v_mul_hi_u32 v13, v1, v11
	v_mul_hi_u32 v14, v1, v4
	;; [unrolled: 1-line block ×3, first 2 shown]
	v_mul_lo_u32 v11, v2, v11
	v_mul_hi_u32 v7, v2, v4
	v_add_co_u32_e32 v12, vcc, v13, v12
	v_addc_co_u32_e32 v13, vcc, 0, v14, vcc
	v_mul_lo_u32 v4, v2, v4
	v_add_co_u32_e32 v11, vcc, v12, v11
	v_addc_co_u32_e32 v10, vcc, v13, v10, vcc
	v_addc_co_u32_e32 v7, vcc, 0, v7, vcc
	v_add_co_u32_e32 v4, vcc, v10, v4
	v_addc_co_u32_e32 v7, vcc, 0, v7, vcc
	v_add_co_u32_e32 v4, vcc, v1, v4
	v_addc_co_u32_e32 v7, vcc, v2, v7, vcc
	v_mad_u64_u32 v[1:2], s[0:1], v5, v7, 0
	v_mul_hi_u32 v10, v5, v4
	v_add_co_u32_e32 v12, vcc, v10, v1
	v_addc_co_u32_e32 v13, vcc, 0, v2, vcc
	v_mad_u64_u32 v[1:2], s[0:1], v6, v4, 0
	v_mad_u64_u32 v[10:11], s[0:1], v6, v7, 0
	v_add_co_u32_e32 v1, vcc, v12, v1
	v_addc_co_u32_e32 v1, vcc, v13, v2, vcc
	v_addc_co_u32_e32 v2, vcc, 0, v11, vcc
	v_add_co_u32_e32 v4, vcc, v1, v10
	v_addc_co_u32_e32 v7, vcc, 0, v2, vcc
	v_mul_lo_u32 v10, s29, v4
	v_mul_lo_u32 v11, s28, v7
	v_mad_u64_u32 v[1:2], s[0:1], s28, v4, 0
	v_add3_u32 v2, v2, v11, v10
	v_sub_u32_e32 v10, v6, v2
	v_mov_b32_e32 v11, s29
	v_sub_co_u32_e32 v1, vcc, v5, v1
	v_subb_co_u32_e64 v10, s[0:1], v10, v11, vcc
	v_subrev_co_u32_e64 v11, s[0:1], s28, v1
	v_subbrev_co_u32_e64 v10, s[0:1], 0, v10, s[0:1]
	v_cmp_le_u32_e64 s[0:1], s29, v10
	v_cndmask_b32_e64 v12, 0, -1, s[0:1]
	v_cmp_le_u32_e64 s[0:1], s28, v11
	v_cndmask_b32_e64 v11, 0, -1, s[0:1]
	v_cmp_eq_u32_e64 s[0:1], s29, v10
	v_cndmask_b32_e64 v10, v12, v11, s[0:1]
	v_add_co_u32_e64 v11, s[0:1], 2, v4
	v_addc_co_u32_e64 v12, s[0:1], 0, v7, s[0:1]
	v_add_co_u32_e64 v13, s[0:1], 1, v4
	v_addc_co_u32_e64 v14, s[0:1], 0, v7, s[0:1]
	v_subb_co_u32_e32 v2, vcc, v6, v2, vcc
	v_cmp_ne_u32_e64 s[0:1], 0, v10
	v_cmp_le_u32_e32 vcc, s29, v2
	v_cndmask_b32_e64 v10, v14, v12, s[0:1]
	v_cndmask_b32_e64 v12, 0, -1, vcc
	v_cmp_le_u32_e32 vcc, s28, v1
	v_cndmask_b32_e64 v1, 0, -1, vcc
	v_cmp_eq_u32_e32 vcc, s29, v2
	v_cndmask_b32_e32 v1, v12, v1, vcc
	v_cmp_ne_u32_e32 vcc, 0, v1
	v_cndmask_b32_e64 v1, v13, v11, s[0:1]
	v_cndmask_b32_e32 v2, v7, v10, vcc
	v_cndmask_b32_e32 v1, v4, v1, vcc
.LBB0_4:                                ;   in Loop: Header=BB0_2 Depth=1
	s_andn2_saveexec_b64 s[0:1], s[30:31]
	s_cbranch_execz .LBB0_6
; %bb.5:                                ;   in Loop: Header=BB0_2 Depth=1
	v_cvt_f32_u32_e32 v1, s28
	s_sub_i32 s30, 0, s28
	v_rcp_iflag_f32_e32 v1, v1
	v_mul_f32_e32 v1, 0x4f7ffffe, v1
	v_cvt_u32_f32_e32 v1, v1
	v_mul_lo_u32 v2, s30, v1
	v_mul_hi_u32 v2, v1, v2
	v_add_u32_e32 v1, v1, v2
	v_mul_hi_u32 v1, v5, v1
	v_mul_lo_u32 v2, v1, s28
	v_add_u32_e32 v4, 1, v1
	v_sub_u32_e32 v2, v5, v2
	v_subrev_u32_e32 v7, s28, v2
	v_cmp_le_u32_e32 vcc, s28, v2
	v_cndmask_b32_e32 v2, v2, v7, vcc
	v_cndmask_b32_e32 v1, v1, v4, vcc
	v_add_u32_e32 v4, 1, v1
	v_cmp_le_u32_e32 vcc, s28, v2
	v_cndmask_b32_e32 v1, v1, v4, vcc
	v_mov_b32_e32 v2, v3
.LBB0_6:                                ;   in Loop: Header=BB0_2 Depth=1
	s_or_b64 exec, exec, s[0:1]
	v_mul_lo_u32 v4, v2, s28
	v_mul_lo_u32 v7, v1, s29
	v_mad_u64_u32 v[10:11], s[0:1], v1, s28, 0
	s_load_dwordx2 s[0:1], s[22:23], 0x0
	s_load_dwordx2 s[28:29], s[6:7], 0x0
	v_add3_u32 v4, v11, v7, v4
	v_sub_co_u32_e32 v5, vcc, v5, v10
	v_subb_co_u32_e32 v4, vcc, v6, v4, vcc
	s_waitcnt lgkmcnt(0)
	v_mul_lo_u32 v6, s0, v4
	v_mul_lo_u32 v7, s1, v5
	v_mad_u64_u32 v[24:25], s[0:1], s0, v5, v[24:25]
	v_mul_lo_u32 v4, s28, v4
	v_mul_lo_u32 v10, s29, v5
	v_mad_u64_u32 v[8:9], s[0:1], s28, v5, v[8:9]
	s_add_u32 s26, s26, 1
	s_addc_u32 s27, s27, 0
	s_add_u32 s6, s6, 8
	v_add3_u32 v9, v10, v9, v4
	s_addc_u32 s7, s7, 0
	v_mov_b32_e32 v4, s14
	s_add_u32 s22, s22, 8
	v_mov_b32_e32 v5, s15
	s_addc_u32 s23, s23, 0
	v_cmp_ge_u64_e32 vcc, s[26:27], v[4:5]
	s_add_u32 s24, s24, 8
	v_add3_u32 v25, v7, v25, v6
	s_addc_u32 s25, s25, 0
	s_cbranch_vccnz .LBB0_9
; %bb.7:                                ;   in Loop: Header=BB0_2 Depth=1
	v_mov_b32_e32 v6, v2
	v_mov_b32_e32 v5, v1
	s_branch .LBB0_2
.LBB0_8:
	v_mov_b32_e32 v8, v24
	v_mov_b32_e32 v1, v5
	;; [unrolled: 1-line block ×4, first 2 shown]
.LBB0_9:
	s_load_dwordx2 s[0:1], s[4:5], 0x28
	s_lshl_b64 s[14:15], s[14:15], 3
	s_add_u32 s4, s18, s14
	s_addc_u32 s5, s19, s15
                                        ; implicit-def: $sgpr18_sgpr19
                                        ; implicit-def: $vgpr115
                                        ; implicit-def: $vgpr116
                                        ; implicit-def: $vgpr117
                                        ; implicit-def: $vgpr118
                                        ; implicit-def: $vgpr7
	s_waitcnt lgkmcnt(0)
	v_cmp_gt_u64_e32 vcc, s[0:1], v[1:2]
	v_cmp_le_u64_e64 s[0:1], s[0:1], v[1:2]
	s_and_saveexec_b64 s[6:7], s[0:1]
	s_xor_b64 s[0:1], exec, s[6:7]
; %bb.10:
	s_mov_b32 s6, 0x4a7904b
	v_mul_hi_u32 v3, v0, s6
	s_mov_b64 s[18:19], 0
                                        ; implicit-def: $vgpr24_vgpr25
	v_mul_u32_u24_e32 v3, 55, v3
	v_sub_u32_e32 v115, v0, v3
	v_add_u32_e32 v116, 55, v115
	v_add_u32_e32 v117, 0x6e, v115
	;; [unrolled: 1-line block ×4, first 2 shown]
                                        ; implicit-def: $vgpr0
; %bb.11:
	s_or_saveexec_b64 s[6:7], s[0:1]
	v_mov_b32_e32 v49, s19
	v_mov_b32_e32 v82, s19
	v_mov_b32_e32 v84, s19
	v_mov_b32_e32 v74, s19
	v_mov_b32_e32 v67, s19
	v_mov_b32_e32 v69, s19
	v_mov_b32_e32 v71, s19
	v_mov_b32_e32 v63, s19
	v_mov_b32_e32 v55, s19
	v_mov_b32_e32 v57, s19
	v_mov_b32_e32 v59, s19
	v_mov_b32_e32 v41, s19
	v_mov_b32_e32 v33, s19
	v_mov_b32_e32 v35, s19
	v_mov_b32_e32 v37, s19
	v_mov_b32_e32 v29, s19
	v_mov_b32_e32 v21, s19
	v_mov_b32_e32 v23, s19
	v_mov_b32_e32 v27, s19
	v_mov_b32_e32 v16, s18
	v_mov_b32_e32 v48, s18
	v_mov_b32_e32 v81, s18
	v_mov_b32_e32 v83, s18
	v_mov_b32_e32 v73, s18
	v_mov_b32_e32 v66, s18
	v_mov_b32_e32 v68, s18
	v_mov_b32_e32 v70, s18
	v_mov_b32_e32 v62, s18
	v_mov_b32_e32 v54, s18
	v_mov_b32_e32 v56, s18
	v_mov_b32_e32 v58, s18
	v_mov_b32_e32 v40, s18
	v_mov_b32_e32 v32, s18
	v_mov_b32_e32 v34, s18
	v_mov_b32_e32 v36, s18
	v_mov_b32_e32 v28, s18
	v_mov_b32_e32 v20, s18
	v_mov_b32_e32 v22, s18
	v_mov_b32_e32 v26, s18
	v_mov_b32_e32 v17, s19
                                        ; implicit-def: $vgpr53
                                        ; implicit-def: $vgpr61
                                        ; implicit-def: $vgpr31
                                        ; implicit-def: $vgpr39
                                        ; implicit-def: $vgpr11
                                        ; implicit-def: $vgpr13
                                        ; implicit-def: $vgpr15
                                        ; implicit-def: $vgpr4
                                        ; implicit-def: $vgpr6
                                        ; implicit-def: $vgpr19
                                        ; implicit-def: $vgpr51
                                        ; implicit-def: $vgpr47
                                        ; implicit-def: $vgpr45
                                        ; implicit-def: $vgpr65
                                        ; implicit-def: $vgpr90
	s_xor_b64 exec, exec, s[6:7]
	s_cbranch_execz .LBB0_13
; %bb.12:
	s_add_u32 s0, s16, s14
	s_mov_b32 s14, 0x4a7904b
	v_mul_hi_u32 v3, v0, s14
	s_addc_u32 s1, s17, s15
	s_load_dwordx2 s[0:1], s[0:1], 0x0
	v_mul_u32_u24_e32 v3, 55, v3
	v_sub_u32_e32 v115, v0, v3
	v_mad_u64_u32 v[3:4], s[14:15], s20, v115, 0
	s_waitcnt lgkmcnt(0)
	v_mul_lo_u32 v7, s1, v1
	v_mul_lo_u32 v12, s0, v2
	v_mad_u64_u32 v[5:6], s[0:1], s0, v1, 0
	v_mov_b32_e32 v0, v4
	v_mad_u64_u32 v[10:11], s[0:1], s21, v115, v[0:1]
	v_add3_u32 v6, v6, v12, v7
	v_lshlrev_b64 v[5:6], 3, v[5:6]
	v_mov_b32_e32 v0, s9
	v_add_co_u32_e64 v7, s[0:1], s8, v5
	v_add_u32_e32 v13, 0x113, v115
	v_mov_b32_e32 v4, v10
	v_addc_co_u32_e64 v12, s[0:1], v0, v6, s[0:1]
	v_mad_u64_u32 v[10:11], s[0:1], s20, v13, 0
	v_lshlrev_b64 v[5:6], 3, v[24:25]
	v_add_u32_e32 v14, 0x226, v115
	v_add_co_u32_e64 v0, s[0:1], v7, v5
	v_mov_b32_e32 v5, v11
	v_addc_co_u32_e64 v24, s[0:1], v12, v6, s[0:1]
	v_mad_u64_u32 v[5:6], s[0:1], s21, v13, v[5:6]
	v_mad_u64_u32 v[12:13], s[0:1], s20, v14, 0
	v_lshlrev_b64 v[3:4], 3, v[3:4]
	v_mov_b32_e32 v11, v5
	v_add_co_u32_e64 v3, s[0:1], v0, v3
	v_mov_b32_e32 v7, v13
	v_add_u32_e32 v16, 0x339, v115
	v_addc_co_u32_e64 v4, s[0:1], v24, v4, s[0:1]
	v_lshlrev_b64 v[5:6], 3, v[10:11]
	v_mad_u64_u32 v[10:11], s[0:1], s21, v14, v[7:8]
	v_mad_u64_u32 v[14:15], s[0:1], s20, v16, 0
	v_add_co_u32_e64 v5, s[0:1], v0, v5
	v_mov_b32_e32 v13, v10
	v_mov_b32_e32 v7, v15
	v_add_u32_e32 v18, 0x44c, v115
	v_addc_co_u32_e64 v6, s[0:1], v24, v6, s[0:1]
	v_lshlrev_b64 v[10:11], 3, v[12:13]
	v_mad_u64_u32 v[12:13], s[0:1], s21, v16, v[7:8]
	v_mad_u64_u32 v[16:17], s[0:1], s20, v18, 0
	v_add_co_u32_e64 v10, s[0:1], v0, v10
	v_mov_b32_e32 v15, v12
	;; [unrolled: 8-line block ×10, first 2 shown]
	v_mov_b32_e32 v7, v34
	v_addc_co_u32_e64 v28, s[0:1], v24, v28, s[0:1]
	v_lshlrev_b64 v[29:30], 3, v[31:32]
	v_mad_u64_u32 v[31:32], s[0:1], s21, v35, v[7:8]
	v_add_u32_e32 v32, 0x6a9, v115
	v_mad_u64_u32 v[35:36], s[0:1], s20, v32, 0
	v_add_co_u32_e64 v42, s[0:1], v0, v29
	v_mov_b32_e32 v7, v36
	v_addc_co_u32_e64 v43, s[0:1], v24, v30, s[0:1]
	v_mov_b32_e32 v34, v31
	v_mad_u64_u32 v[31:32], s[0:1], s21, v32, v[7:8]
	v_add_u32_e32 v117, 0x6e, v115
	v_lshlrev_b64 v[29:30], 3, v[33:34]
	v_mad_u64_u32 v[32:33], s[0:1], s20, v117, 0
	v_add_co_u32_e64 v44, s[0:1], v0, v29
	v_mov_b32_e32 v7, v33
	v_addc_co_u32_e64 v45, s[0:1], v24, v30, s[0:1]
	v_mov_b32_e32 v36, v31
	v_mad_u64_u32 v[33:34], s[0:1], s21, v117, v[7:8]
	v_add_u32_e32 v31, 0x181, v115
	v_lshlrev_b64 v[29:30], 3, v[35:36]
	v_mad_u64_u32 v[34:35], s[0:1], s20, v31, 0
	v_add_co_u32_e64 v36, s[0:1], v0, v29
	v_mov_b32_e32 v7, v35
	v_addc_co_u32_e64 v37, s[0:1], v24, v30, s[0:1]
	v_lshlrev_b64 v[29:30], 3, v[32:33]
	v_mad_u64_u32 v[31:32], s[0:1], s21, v31, v[7:8]
	v_add_u32_e32 v38, 0x294, v115
	v_mad_u64_u32 v[32:33], s[0:1], s20, v38, 0
	v_add_co_u32_e64 v46, s[0:1], v0, v29
	v_mov_b32_e32 v35, v31
	v_mov_b32_e32 v7, v33
	v_addc_co_u32_e64 v47, s[0:1], v24, v30, s[0:1]
	v_lshlrev_b64 v[29:30], 3, v[34:35]
	v_mad_u64_u32 v[33:34], s[0:1], s21, v38, v[7:8]
	v_add_u32_e32 v31, 0x3a7, v115
	v_mad_u64_u32 v[34:35], s[0:1], s20, v31, 0
	v_add_co_u32_e64 v75, s[0:1], v0, v29
	v_mov_b32_e32 v7, v35
	v_addc_co_u32_e64 v76, s[0:1], v24, v30, s[0:1]
	v_lshlrev_b64 v[29:30], 3, v[32:33]
	v_mad_u64_u32 v[31:32], s[0:1], s21, v31, v[7:8]
	v_add_u32_e32 v38, 0x4ba, v115
	v_mad_u64_u32 v[32:33], s[0:1], s20, v38, 0
	v_add_co_u32_e64 v77, s[0:1], v0, v29
	v_mov_b32_e32 v35, v31
	v_mov_b32_e32 v7, v33
	v_addc_co_u32_e64 v78, s[0:1], v24, v30, s[0:1]
	v_lshlrev_b64 v[29:30], 3, v[34:35]
	v_mad_u64_u32 v[33:34], s[0:1], s21, v38, v[7:8]
	v_add_u32_e32 v31, 0x5cd, v115
	;; [unrolled: 15-line block ×9, first 2 shown]
	v_mad_u64_u32 v[34:35], s[0:1], s20, v38, 0
	v_add_co_u32_e64 v113, s[0:1], v0, v29
	v_mov_b32_e32 v31, v35
	v_addc_co_u32_e64 v114, s[0:1], v24, v30, s[0:1]
	v_lshlrev_b64 v[29:30], 3, v[32:33]
	v_mad_u64_u32 v[31:32], s[0:1], s21, v38, v[31:32]
	v_add_u32_e32 v32, 0x74e, v115
	v_mad_u64_u32 v[119:120], s[0:1], s20, v32, 0
	v_add_co_u32_e64 v121, s[0:1], v0, v29
	v_mov_b32_e32 v35, v31
	v_mov_b32_e32 v31, v120
	v_addc_co_u32_e64 v122, s[0:1], v24, v30, s[0:1]
	v_mad_u64_u32 v[31:32], s[0:1], s21, v32, v[31:32]
	v_lshlrev_b64 v[29:30], 3, v[34:35]
	v_add_co_u32_e64 v123, s[0:1], v0, v29
	v_addc_co_u32_e64 v124, s[0:1], v24, v30, s[0:1]
	v_mov_b32_e32 v120, v31
	global_load_dwordx2 v[73:74], v[3:4], off
	global_load_dwordx2 v[48:49], v[5:6], off
	;; [unrolled: 1-line block ×15, first 2 shown]
                                        ; kill: killed $vgpr12 killed $vgpr13
                                        ; kill: killed $vgpr20 killed $vgpr21
                                        ; kill: killed $vgpr46 killed $vgpr47
                                        ; kill: killed $vgpr42 killed $vgpr43
                                        ; kill: killed $vgpr22 killed $vgpr23
                                        ; kill: killed $vgpr18 killed $vgpr19
                                        ; kill: killed $vgpr44 killed $vgpr45
                                        ; kill: killed $vgpr25 killed $vgpr26
                                        ; kill: killed $vgpr3 killed $vgpr4
                                        ; kill: killed $vgpr14 killed $vgpr15
                                        ; kill: killed $vgpr27 killed $vgpr28
                                        ; kill: killed $vgpr5 killed $vgpr6
                                        ; kill: killed $vgpr16 killed $vgpr17
                                        ; kill: killed $vgpr10 killed $vgpr11
                                        ; kill: killed $vgpr36 killed $vgpr37
	global_load_dwordx2 v[54:55], v[75:76], off
	global_load_dwordx2 v[56:57], v[77:78], off
	s_nop 0
	global_load_dwordx2 v[44:45], v[79:80], off
	global_load_dwordx2 v[58:59], v[85:86], off
	;; [unrolled: 1-line block ×13, first 2 shown]
                                        ; kill: killed $vgpr91 killed $vgpr92
                                        ; kill: killed $vgpr105 killed $vgpr106
                                        ; kill: killed $vgpr93 killed $vgpr94
                                        ; kill: killed $vgpr107 killed $vgpr108
                                        ; kill: killed $vgpr85 killed $vgpr86
                                        ; kill: killed $vgpr101 killed $vgpr102
                                        ; kill: killed $vgpr75 killed $vgpr76
                                        ; kill: killed $vgpr95 killed $vgpr96
                                        ; kill: killed $vgpr109 killed $vgpr110
                                        ; kill: killed $vgpr87 killed $vgpr88
                                        ; kill: killed $vgpr103 killed $vgpr104
                                        ; kill: killed $vgpr77 killed $vgpr78
                                        ; kill: killed $vgpr97 killed $vgpr98
                                        ; kill: killed $vgpr79 killed $vgpr80
                                        ; kill: killed $vgpr99 killed $vgpr100
	global_load_dwordx2 v[22:23], v[111:112], off
	global_load_dwordx2 v[18:19], v[113:114], off
	v_lshlrev_b64 v[3:4], 3, v[119:120]
	v_add_co_u32_e64 v42, s[0:1], v0, v3
	v_addc_co_u32_e64 v43, s[0:1], v24, v4, s[0:1]
	global_load_dwordx2 v[26:27], v[121:122], off
	global_load_dwordx2 v[3:4], v[123:124], off
	;; [unrolled: 1-line block ×3, first 2 shown]
.LBB0_13:
	s_or_b64 exec, exec, s[6:7]
	s_waitcnt vmcnt(28)
	v_add_f32_e32 v0, v89, v48
	v_add_f32_e32 v24, v60, v81
	;; [unrolled: 1-line block ×4, first 2 shown]
	v_sub_f32_e32 v43, v24, v0
	v_sub_f32_e32 v0, v0, v25
	;; [unrolled: 1-line block ×3, first 2 shown]
	v_add_f32_e32 v25, v42, v25
	v_sub_f32_e32 v72, v82, v61
	v_sub_f32_e32 v75, v84, v53
	;; [unrolled: 1-line block ×3, first 2 shown]
	v_add_f32_e32 v76, v72, v75
	v_add_f32_e32 v73, v25, v73
	v_sub_f32_e32 v77, v75, v72
	v_sub_f32_e32 v75, v42, v75
	;; [unrolled: 1-line block ×3, first 2 shown]
	v_add_f32_e32 v42, v42, v76
	v_mov_b32_e32 v76, v73
	v_mul_f32_e32 v24, 0x3d64c772, v24
	s_mov_b32 s9, 0x3f3bfb3b
	v_fmac_f32_e32 v76, 0xbf955555, v25
	v_mul_f32_e32 v25, 0x3f08b237, v77
	s_mov_b32 s8, 0xbf5ff5aa
	v_fma_f32 v77, v43, s9, -v24
	v_fmac_f32_e32 v24, 0x3f4a47b2, v0
	v_mul_f32_e32 v0, 0x3f4a47b2, v0
	s_mov_b32 s15, 0xbf3bfb3b
	v_fma_f32 v78, v72, s8, -v25
	v_fmac_f32_e32 v25, 0xbeae86e6, v75
	v_fma_f32 v0, v43, s15, -v0
	v_mul_f32_e32 v43, 0xbf5ff5aa, v72
	s_mov_b32 s14, 0x3eae86e6
	v_add_f32_e32 v24, v24, v76
	v_fmac_f32_e32 v25, 0xbee1c552, v42
	v_fma_f32 v43, v75, s14, -v43
	v_add_f32_e32 v79, v24, v25
	v_mad_u32_u24 v122, v115, 28, 0
	v_add_f32_e32 v72, v77, v76
	v_add_f32_e32 v0, v0, v76
	v_fmac_f32_e32 v78, 0xbee1c552, v42
	v_fmac_f32_e32 v43, 0xbee1c552, v42
	ds_write2_b32 v122, v73, v79 offset1:1
	v_add_f32_e32 v42, v0, v43
	v_sub_f32_e32 v73, v72, v78
	ds_write2_b32 v122, v42, v73 offset0:2 offset1:3
	v_add_f32_e32 v42, v72, v78
	v_sub_f32_e32 v0, v0, v43
	v_sub_f32_e32 v24, v24, v25
	s_waitcnt vmcnt(21)
	v_add_f32_e32 v25, v38, v66
	ds_write2_b32 v122, v42, v0 offset0:4 offset1:5
	v_add_f32_e32 v0, v30, v68
	v_add_f32_e32 v42, v64, v70
	;; [unrolled: 1-line block ×3, first 2 shown]
	v_sub_f32_e32 v72, v0, v25
	v_sub_f32_e32 v25, v25, v42
	;; [unrolled: 1-line block ×3, first 2 shown]
	v_add_f32_e32 v42, v43, v42
	v_sub_f32_e32 v73, v69, v31
	v_sub_f32_e32 v75, v71, v65
	;; [unrolled: 1-line block ×3, first 2 shown]
	v_add_f32_e32 v76, v73, v75
	v_sub_f32_e32 v77, v75, v73
	v_add_f32_e32 v62, v42, v62
	v_sub_f32_e32 v75, v43, v75
	v_sub_f32_e32 v73, v73, v43
	v_add_f32_e32 v43, v43, v76
	v_mov_b32_e32 v76, v62
	ds_write_b32 v122, v24 offset:24
	v_mul_f32_e32 v0, 0x3d64c772, v0
	v_mul_f32_e32 v24, 0x3f08b237, v77
	v_fmac_f32_e32 v76, 0xbf955555, v42
	v_fma_f32 v42, v72, s9, -v0
	v_fmac_f32_e32 v0, 0x3f4a47b2, v25
	v_fma_f32 v77, v73, s8, -v24
	v_fmac_f32_e32 v24, 0xbeae86e6, v75
	v_add_f32_e32 v0, v0, v76
	v_fmac_f32_e32 v24, 0xbee1c552, v43
	v_add_f32_e32 v78, v0, v24
	v_mad_i32_i24 v123, v116, 28, 0
	ds_write2_b32 v123, v62, v78 offset1:1
	v_mul_f32_e32 v25, 0x3f4a47b2, v25
	v_mul_f32_e32 v62, 0xbf5ff5aa, v73
	v_fma_f32 v25, v72, s15, -v25
	v_fma_f32 v62, v75, s14, -v62
	v_add_f32_e32 v42, v42, v76
	v_add_f32_e32 v25, v25, v76
	v_fmac_f32_e32 v77, 0xbee1c552, v43
	v_fmac_f32_e32 v62, 0xbee1c552, v43
	v_add_f32_e32 v43, v25, v62
	v_sub_f32_e32 v72, v42, v77
	v_add_f32_e32 v42, v42, v77
	v_sub_f32_e32 v25, v25, v62
	v_sub_f32_e32 v0, v0, v24
	ds_write2_b32 v123, v42, v25 offset0:4 offset1:5
	s_waitcnt vmcnt(14)
	v_add_f32_e32 v24, v50, v54
	v_add_f32_e32 v25, v46, v56
	ds_write2_b32 v123, v43, v72 offset0:2 offset1:3
	v_add_f32_e32 v42, v44, v58
	v_add_f32_e32 v43, v24, v25
	v_sub_f32_e32 v62, v25, v24
	v_sub_f32_e32 v24, v24, v42
	;; [unrolled: 1-line block ×3, first 2 shown]
	v_add_f32_e32 v42, v43, v42
	v_sub_f32_e32 v72, v57, v47
	v_sub_f32_e32 v73, v59, v45
	;; [unrolled: 1-line block ×3, first 2 shown]
	v_add_f32_e32 v75, v72, v73
	v_sub_f32_e32 v76, v73, v72
	v_add_f32_e32 v40, v42, v40
	v_sub_f32_e32 v73, v43, v73
	v_sub_f32_e32 v72, v72, v43
	v_add_f32_e32 v43, v43, v75
	v_mov_b32_e32 v75, v40
	ds_write_b32 v123, v0 offset:24
	v_mul_f32_e32 v0, 0x3d64c772, v25
	v_mul_f32_e32 v25, 0x3f08b237, v76
	v_fmac_f32_e32 v75, 0xbf955555, v42
	v_fma_f32 v42, v62, s9, -v0
	v_fmac_f32_e32 v0, 0x3f4a47b2, v24
	v_fma_f32 v76, v72, s8, -v25
	v_fmac_f32_e32 v25, 0xbeae86e6, v73
	v_add_f32_e32 v0, v0, v75
	v_fmac_f32_e32 v25, 0xbee1c552, v43
	v_add_f32_e32 v77, v0, v25
	v_mad_i32_i24 v124, v117, 28, 0
	ds_write2_b32 v124, v40, v77 offset1:1
	v_mul_f32_e32 v24, 0x3f4a47b2, v24
	v_mul_f32_e32 v40, 0xbf5ff5aa, v72
	v_fma_f32 v24, v62, s15, -v24
	v_fma_f32 v40, v73, s14, -v40
	v_add_f32_e32 v42, v42, v75
	v_add_f32_e32 v24, v24, v75
	v_fmac_f32_e32 v76, 0xbee1c552, v43
	v_fmac_f32_e32 v40, 0xbee1c552, v43
	v_add_f32_e32 v43, v24, v40
	v_sub_f32_e32 v62, v42, v76
	v_add_f32_e32 v42, v42, v76
	v_sub_f32_e32 v24, v24, v40
	ds_write2_b32 v124, v42, v24 offset0:4 offset1:5
	v_sub_f32_e32 v0, v0, v25
	s_waitcnt vmcnt(7)
	v_add_f32_e32 v24, v14, v32
	v_add_f32_e32 v25, v12, v34
	ds_write2_b32 v124, v43, v62 offset0:2 offset1:3
	v_add_f32_e32 v40, v10, v36
	v_add_f32_e32 v42, v24, v25
	v_sub_f32_e32 v62, v35, v13
	v_sub_f32_e32 v72, v37, v11
	;; [unrolled: 1-line block ×5, first 2 shown]
	v_add_f32_e32 v40, v42, v40
	v_sub_f32_e32 v42, v33, v15
	v_add_f32_e32 v73, v62, v72
	v_sub_f32_e32 v75, v72, v62
	v_sub_f32_e32 v72, v42, v72
	;; [unrolled: 1-line block ×3, first 2 shown]
	v_add_f32_e32 v42, v42, v73
	v_add_f32_e32 v73, v40, v28
	v_mov_b32_e32 v76, v73
	ds_write_b32 v124, v0 offset:24
	v_mul_f32_e32 v0, 0x3d64c772, v25
	v_fmac_f32_e32 v76, 0xbf955555, v40
	v_fma_f32 v40, v43, s9, -v0
	v_fmac_f32_e32 v0, 0x3f4a47b2, v24
	v_mul_f32_e32 v24, 0x3f4a47b2, v24
	v_mul_f32_e32 v25, 0x3f08b237, v75
	v_fma_f32 v24, v43, s15, -v24
	v_mul_f32_e32 v43, 0xbf5ff5aa, v62
	v_fma_f32 v75, v62, s8, -v25
	v_fma_f32 v43, v72, s14, -v43
	v_fmac_f32_e32 v25, 0xbeae86e6, v72
	v_add_f32_e32 v40, v40, v76
	v_add_f32_e32 v24, v24, v76
	v_fmac_f32_e32 v75, 0xbee1c552, v42
	v_fmac_f32_e32 v43, 0xbee1c552, v42
	v_add_f32_e32 v0, v0, v76
	v_fmac_f32_e32 v25, 0xbee1c552, v42
	v_mad_i32_i24 v28, v118, 28, 0
	v_add_f32_e32 v42, v24, v43
	v_sub_f32_e32 v62, v40, v75
	v_add_f32_e32 v40, v40, v75
	v_sub_f32_e32 v24, v24, v43
	v_add_f32_e32 v77, v0, v25
	ds_write2_b32 v28, v40, v24 offset0:4 offset1:5
	v_sub_f32_e32 v0, v0, v25
	s_waitcnt vmcnt(0)
	v_add_f32_e32 v24, v5, v20
	v_add_f32_e32 v25, v3, v22
	ds_write2_b32 v28, v42, v62 offset0:2 offset1:3
	v_add_f32_e32 v40, v18, v26
	v_add_f32_e32 v42, v24, v25
	v_sub_f32_e32 v43, v25, v24
	v_sub_f32_e32 v24, v24, v40
	;; [unrolled: 1-line block ×3, first 2 shown]
	v_add_f32_e32 v40, v42, v40
	v_sub_f32_e32 v62, v23, v4
	v_sub_f32_e32 v72, v27, v19
	ds_write2_b32 v28, v73, v77 offset1:1
	v_sub_f32_e32 v42, v21, v6
	v_add_f32_e32 v73, v62, v72
	v_sub_f32_e32 v75, v72, v62
	v_add_f32_e32 v16, v40, v16
	v_sub_f32_e32 v72, v42, v72
	v_sub_f32_e32 v62, v62, v42
	v_add_f32_e32 v42, v42, v73
	v_mov_b32_e32 v73, v16
	ds_write_b32 v28, v0 offset:24
	v_mul_f32_e32 v0, 0x3d64c772, v25
	v_mul_f32_e32 v25, 0x3f08b237, v75
	v_fmac_f32_e32 v73, 0xbf955555, v40
	v_fma_f32 v40, v43, s9, -v0
	v_fmac_f32_e32 v0, 0x3f4a47b2, v24
	v_fma_f32 v75, v62, s8, -v25
	v_fmac_f32_e32 v25, 0xbeae86e6, v72
	v_add_f32_e32 v0, v0, v73
	v_fmac_f32_e32 v25, 0xbee1c552, v42
	v_add_f32_e32 v76, v0, v25
	v_mad_i32_i24 v77, v7, 28, 0
	ds_write2_b32 v77, v16, v76 offset1:1
	v_mul_f32_e32 v16, 0x3f4a47b2, v24
	v_mul_f32_e32 v24, 0xbf5ff5aa, v62
	v_fma_f32 v16, v43, s15, -v16
	v_fma_f32 v24, v72, s14, -v24
	v_add_f32_e32 v40, v40, v73
	v_add_f32_e32 v16, v16, v73
	v_fmac_f32_e32 v75, 0xbee1c552, v42
	v_fmac_f32_e32 v24, 0xbee1c552, v42
	v_add_f32_e32 v42, v16, v24
	v_sub_f32_e32 v43, v40, v75
	s_movk_i32 s16, 0xffe8
	ds_write2_b32 v77, v42, v43 offset0:2 offset1:3
	v_add_f32_e32 v40, v40, v75
	v_sub_f32_e32 v62, v16, v24
	v_sub_f32_e32 v42, v0, v25
	v_mad_i32_i24 v0, v117, s16, v124
	v_mad_i32_i24 v24, v116, s16, v123
	;; [unrolled: 1-line block ×3, first 2 shown]
	ds_write2_b32 v77, v40, v62 offset0:4 offset1:5
	ds_write_b32 v77, v42 offset:24
	s_load_dwordx2 s[4:5], s[4:5], 0x0
	s_waitcnt lgkmcnt(0)
	; wave barrier
	s_waitcnt lgkmcnt(0)
	v_add_u32_e32 v40, 0x400, v119
	v_add_u32_e32 v132, 0x600, v119
	;; [unrolled: 1-line block ×10, first 2 shown]
	ds_read_b32 v120, v0
	ds_read_b32 v121, v24
	ds_read_b32 v136, v119 offset:7440
	ds_read2_b32 v[24:25], v119 offset1:175
	ds_read2_b32 v[113:114], v40 offset0:94 offset1:149
	ds_read2_b32 v[99:100], v132 offset0:76 offset1:141
	;; [unrolled: 1-line block ×12, first 2 shown]
	ds_read2_b32 v[93:94], v127 offset1:55
	ds_read2_b32 v[87:88], v128 offset0:94 offset1:149
	v_cmp_gt_u32_e64 s[0:1], 10, v115
	v_mul_i32_i24_e32 v135, 28, v7
	v_mul_i32_i24_e32 v134, 0xffffffe8, v116
	;; [unrolled: 1-line block ×3, first 2 shown]
                                        ; implicit-def: $vgpr79
                                        ; implicit-def: $vgpr77
                                        ; implicit-def: $vgpr73
                                        ; implicit-def: $vgpr76
	s_and_saveexec_b64 s[6:7], s[0:1]
	s_cbranch_execz .LBB0_15
; %bb.14:
	v_mad_i32_i24 v0, v118, s16, v28
	ds_read_b32 v62, v0
	v_add_u32_e32 v0, 0x500, v119
	ds_read2_b32 v[42:43], v0 offset0:20 offset1:195
	v_add_u32_e32 v0, 0xa00, v119
	ds_read2_b32 v[79:80], v0 offset0:50 offset1:225
	ds_read2_b32 v[77:78], v16 offset0:16 offset1:191
	v_add_u32_e32 v0, 0x1500, v119
	ds_read2_b32 v[75:76], v0 offset0:46 offset1:221
	ds_read2_b32 v[72:73], v131 offset0:76 offset1:251
.LBB0_15:
	s_or_b64 exec, exec, s[6:7]
	v_add_f32_e32 v0, v90, v49
	v_add_f32_e32 v49, v61, v82
	;; [unrolled: 1-line block ×4, first 2 shown]
	v_sub_f32_e32 v48, v48, v89
	v_sub_f32_e32 v60, v81, v60
	;; [unrolled: 1-line block ×6, first 2 shown]
	v_add_f32_e32 v53, v61, v53
	v_add_f32_e32 v82, v60, v52
	v_sub_f32_e32 v83, v52, v60
	v_sub_f32_e32 v60, v60, v48
	v_add_f32_e32 v61, v53, v74
	v_sub_f32_e32 v52, v48, v52
	v_add_f32_e32 v48, v48, v82
	v_mul_f32_e32 v74, 0x3f4a47b2, v0
	v_mul_f32_e32 v49, 0x3d64c772, v49
	;; [unrolled: 1-line block ×4, first 2 shown]
	v_mov_b32_e32 v84, v61
	v_fmac_f32_e32 v84, 0xbf955555, v53
	v_fma_f32 v53, v81, s9, -v49
	v_fmac_f32_e32 v49, 0x3f4a47b2, v0
	v_fma_f32 v0, v81, s15, -v74
	v_fma_f32 v60, v60, s8, -v82
	v_fmac_f32_e32 v82, 0xbeae86e6, v52
	v_fma_f32 v52, v52, s14, -v83
	v_add_f32_e32 v0, v0, v84
	v_fmac_f32_e32 v52, 0xbee1c552, v48
	v_add_f32_e32 v53, v53, v84
	v_fmac_f32_e32 v60, 0xbee1c552, v48
	v_sub_f32_e32 v74, v0, v52
	v_add_f32_e32 v52, v52, v0
	v_add_f32_e32 v0, v39, v67
	;; [unrolled: 1-line block ×4, first 2 shown]
	v_sub_f32_e32 v53, v53, v60
	v_add_f32_e32 v39, v65, v71
	v_sub_f32_e32 v60, v70, v64
	v_add_f32_e32 v64, v0, v31
	v_sub_f32_e32 v38, v66, v38
	v_sub_f32_e32 v30, v68, v30
	v_sub_f32_e32 v65, v31, v0
	v_sub_f32_e32 v0, v0, v39
	v_sub_f32_e32 v31, v39, v31
	v_add_f32_e32 v39, v64, v39
	v_add_f32_e32 v66, v30, v60
	v_sub_f32_e32 v67, v60, v30
	v_sub_f32_e32 v30, v30, v38
	v_add_f32_e32 v63, v39, v63
	v_sub_f32_e32 v60, v38, v60
	v_add_f32_e32 v38, v38, v66
	v_mul_f32_e32 v64, 0x3f4a47b2, v0
	v_mul_f32_e32 v31, 0x3d64c772, v31
	;; [unrolled: 1-line block ×4, first 2 shown]
	v_mov_b32_e32 v68, v63
	v_fmac_f32_e32 v68, 0xbf955555, v39
	v_fma_f32 v39, v65, s9, -v31
	v_fmac_f32_e32 v31, 0x3f4a47b2, v0
	v_fma_f32 v0, v65, s15, -v64
	v_fma_f32 v30, v30, s8, -v66
	v_fmac_f32_e32 v66, 0xbeae86e6, v60
	v_fma_f32 v60, v60, s14, -v67
	v_add_f32_e32 v39, v39, v68
	v_add_f32_e32 v0, v0, v68
	v_fmac_f32_e32 v30, 0xbee1c552, v38
	v_fmac_f32_e32 v60, 0xbee1c552, v38
	v_sub_f32_e32 v64, v0, v60
	v_add_f32_e32 v65, v30, v39
	v_sub_f32_e32 v30, v39, v30
	v_add_f32_e32 v39, v60, v0
	v_add_f32_e32 v0, v51, v55
	;; [unrolled: 1-line block ×5, first 2 shown]
	v_sub_f32_e32 v50, v54, v50
	v_sub_f32_e32 v46, v56, v46
	;; [unrolled: 1-line block ×6, first 2 shown]
	v_add_f32_e32 v45, v51, v45
	v_add_f32_e32 v55, v46, v44
	v_sub_f32_e32 v56, v44, v46
	v_sub_f32_e32 v46, v46, v50
	v_add_f32_e32 v41, v45, v41
	v_sub_f32_e32 v44, v50, v44
	v_add_f32_e32 v50, v50, v55
	v_mul_f32_e32 v51, 0x3f4a47b2, v0
	v_mul_f32_e32 v47, 0x3d64c772, v47
	;; [unrolled: 1-line block ×4, first 2 shown]
	v_mov_b32_e32 v57, v41
	v_fmac_f32_e32 v57, 0xbf955555, v45
	v_fma_f32 v45, v54, s9, -v47
	v_fmac_f32_e32 v47, 0x3f4a47b2, v0
	v_fma_f32 v0, v54, s15, -v51
	v_fma_f32 v46, v46, s8, -v55
	v_fmac_f32_e32 v55, 0xbeae86e6, v44
	v_fma_f32 v44, v44, s14, -v56
	v_add_f32_e32 v0, v0, v57
	v_fmac_f32_e32 v44, 0xbee1c552, v50
	v_sub_f32_e32 v51, v0, v44
	v_add_f32_e32 v44, v44, v0
	v_add_f32_e32 v0, v15, v33
	;; [unrolled: 1-line block ×5, first 2 shown]
	v_sub_f32_e32 v14, v32, v14
	v_sub_f32_e32 v12, v34, v12
	;; [unrolled: 1-line block ×6, first 2 shown]
	v_add_f32_e32 v11, v15, v11
	v_add_f32_e32 v33, v12, v10
	v_sub_f32_e32 v34, v10, v12
	v_sub_f32_e32 v12, v12, v14
	v_add_f32_e32 v15, v11, v29
	v_sub_f32_e32 v10, v14, v10
	v_add_f32_e32 v14, v14, v33
	v_mul_f32_e32 v29, 0x3f4a47b2, v0
	v_mul_f32_e32 v13, 0x3d64c772, v13
	;; [unrolled: 1-line block ×4, first 2 shown]
	v_mov_b32_e32 v35, v15
	v_fmac_f32_e32 v35, 0xbf955555, v11
	v_fma_f32 v11, v32, s9, -v13
	v_fmac_f32_e32 v13, 0x3f4a47b2, v0
	v_fma_f32 v0, v32, s15, -v29
	v_fma_f32 v12, v12, s8, -v33
	v_fmac_f32_e32 v33, 0xbeae86e6, v10
	v_fma_f32 v10, v10, s14, -v34
	v_add_f32_e32 v0, v0, v35
	v_fmac_f32_e32 v10, 0xbee1c552, v14
	v_add_f32_e32 v13, v13, v35
	v_add_f32_e32 v11, v11, v35
	v_fmac_f32_e32 v33, 0xbee1c552, v14
	v_fmac_f32_e32 v12, 0xbee1c552, v14
	v_sub_f32_e32 v29, v0, v10
	v_add_f32_e32 v10, v10, v0
	v_add_f32_e32 v0, v6, v21
	v_add_f32_e32 v4, v4, v23
	v_sub_f32_e32 v14, v13, v33
	v_add_f32_e32 v32, v12, v11
	v_sub_f32_e32 v11, v11, v12
	v_add_f32_e32 v12, v33, v13
	v_add_f32_e32 v6, v19, v27
	v_sub_f32_e32 v13, v26, v18
	v_add_f32_e32 v18, v0, v4
	v_sub_f32_e32 v3, v22, v3
	v_sub_f32_e32 v19, v4, v0
	v_sub_f32_e32 v0, v0, v6
	v_sub_f32_e32 v4, v6, v4
	v_add_f32_e32 v6, v18, v6
	v_sub_f32_e32 v5, v20, v5
	v_add_f32_e32 v20, v3, v13
	v_sub_f32_e32 v21, v13, v3
	;; [unrolled: 2-line block ×3, first 2 shown]
	v_sub_f32_e32 v3, v3, v5
	v_add_f32_e32 v5, v5, v20
	v_mul_f32_e32 v4, 0x3d64c772, v4
	v_mul_f32_e32 v20, 0x3f08b237, v21
	v_mov_b32_e32 v22, v17
	v_mul_f32_e32 v18, 0x3f4a47b2, v0
	v_mul_f32_e32 v21, 0xbf5ff5aa, v3
	v_fmac_f32_e32 v22, 0xbf955555, v6
	v_fma_f32 v6, v19, s9, -v4
	v_fmac_f32_e32 v4, 0x3f4a47b2, v0
	v_fma_f32 v3, v3, s8, -v20
	v_fmac_f32_e32 v20, 0xbeae86e6, v13
	v_add_f32_e32 v49, v49, v84
	v_fmac_f32_e32 v82, 0xbee1c552, v48
	v_add_f32_e32 v31, v31, v68
	;; [unrolled: 2-line block ×3, first 2 shown]
	v_add_f32_e32 v45, v45, v57
	v_fmac_f32_e32 v55, 0xbee1c552, v50
	v_fmac_f32_e32 v46, 0xbee1c552, v50
	v_fma_f32 v0, v19, s15, -v18
	v_fma_f32 v13, v13, s14, -v21
	v_add_f32_e32 v4, v4, v22
	v_add_f32_e32 v6, v6, v22
	v_fmac_f32_e32 v20, 0xbee1c552, v5
	v_fmac_f32_e32 v3, 0xbee1c552, v5
	v_sub_f32_e32 v48, v49, v82
	v_add_f32_e32 v49, v82, v49
	v_sub_f32_e32 v38, v31, v66
	v_add_f32_e32 v31, v66, v31
	v_add_f32_e32 v54, v46, v45
	v_sub_f32_e32 v45, v45, v46
	v_add_f32_e32 v46, v55, v47
	v_add_f32_e32 v0, v0, v22
	v_fmac_f32_e32 v13, 0xbee1c552, v5
	v_sub_f32_e32 v18, v4, v20
	v_add_f32_e32 v21, v3, v6
	v_sub_f32_e32 v3, v6, v3
	v_add_f32_e32 v5, v20, v4
	v_add_u32_e32 v4, 0, v135
	v_sub_f32_e32 v50, v47, v55
	v_sub_f32_e32 v19, v0, v13
	v_add_f32_e32 v0, v13, v0
	s_waitcnt lgkmcnt(0)
	; wave barrier
	s_waitcnt lgkmcnt(0)
	ds_write2_b32 v122, v61, v48 offset1:1
	ds_write2_b32 v122, v74, v81 offset0:2 offset1:3
	ds_write2_b32 v122, v53, v52 offset0:4 offset1:5
	ds_write_b32 v122, v49 offset:24
	ds_write2_b32 v123, v63, v38 offset1:1
	ds_write2_b32 v123, v64, v65 offset0:2 offset1:3
	ds_write2_b32 v123, v30, v39 offset0:4 offset1:5
	ds_write_b32 v123, v31 offset:24
	;; [unrolled: 4-line block ×5, first 2 shown]
	s_waitcnt lgkmcnt(0)
	; wave barrier
	s_waitcnt lgkmcnt(0)
	ds_read2_b32 v[3:4], v119 offset1:175
	ds_read2_b32 v[48:49], v40 offset0:94 offset1:149
	ds_read2_b32 v[30:31], v132 offset0:76 offset1:141
	;; [unrolled: 1-line block ×12, first 2 shown]
	ds_read2_b32 v[26:27], v127 offset1:55
	ds_read2_b32 v[20:21], v128 offset0:94 offset1:149
	v_add_u32_e32 v71, v124, v133
	v_add_u32_e32 v70, v123, v134
	ds_read_b32 v50, v71
	ds_read_b32 v53, v70
	ds_read_b32 v51, v119 offset:7440
	v_lshl_add_u32 v69, v118, 2, 0
                                        ; implicit-def: $vgpr18
                                        ; implicit-def: $vgpr14
                                        ; implicit-def: $vgpr11
                                        ; implicit-def: $vgpr13
	s_and_saveexec_b64 s[6:7], s[0:1]
	s_cbranch_execz .LBB0_17
; %bb.16:
	v_add_u32_e32 v10, 0xa00, v119
	ds_read2_b32 v[18:19], v10 offset0:50 offset1:225
	v_add_u32_e32 v10, 0x1000, v119
	ds_read2_b32 v[14:15], v10 offset0:16 offset1:191
	v_add_u32_e32 v10, 0x1500, v119
	v_add_u32_e32 v5, 0x500, v119
	ds_read2_b32 v[12:13], v10 offset0:46 offset1:221
	v_add_u32_e32 v10, 0x1a00, v119
	ds_read_b32 v0, v69
	ds_read2_b32 v[5:6], v5 offset0:20 offset1:195
	ds_read2_b32 v[10:11], v10 offset0:76 offset1:251
.LBB0_17:
	s_or_b64 exec, exec, s[6:7]
	v_mov_b32_e32 v52, 37
	v_mul_lo_u16_sdwa v54, v115, v52 dst_sel:DWORD dst_unused:UNUSED_PAD src0_sel:BYTE_0 src1_sel:DWORD
	v_sub_u16_sdwa v55, v115, v54 dst_sel:DWORD dst_unused:UNUSED_PAD src0_sel:DWORD src1_sel:BYTE_1
	v_lshrrev_b16_e32 v55, 1, v55
	v_and_b32_e32 v55, 0x7f, v55
	v_add_u16_sdwa v54, v55, v54 dst_sel:DWORD dst_unused:UNUSED_PAD src0_sel:DWORD src1_sel:BYTE_1
	v_lshrrev_b16_e32 v130, 2, v54
	v_mul_lo_u16_e32 v54, 7, v130
	v_sub_u16_e32 v131, v115, v54
	v_mov_b32_e32 v63, 10
	v_mul_u32_u24_sdwa v54, v131, v63 dst_sel:DWORD dst_unused:UNUSED_PAD src0_sel:BYTE_0 src1_sel:DWORD
	v_lshlrev_b32_e32 v68, 3, v54
	global_load_dwordx4 v[54:57], v68, s[12:13]
	global_load_dwordx4 v[58:61], v68, s[12:13] offset:16
	global_load_dwordx4 v[64:67], v68, s[12:13] offset:48
	;; [unrolled: 1-line block ×3, first 2 shown]
	v_mul_lo_u16_sdwa v74, v116, v52 dst_sel:DWORD dst_unused:UNUSED_PAD src0_sel:BYTE_0 src1_sel:DWORD
	v_sub_u16_sdwa v81, v116, v74 dst_sel:DWORD dst_unused:UNUSED_PAD src0_sel:DWORD src1_sel:BYTE_1
	v_lshrrev_b16_e32 v81, 1, v81
	v_and_b32_e32 v81, 0x7f, v81
	v_add_u16_sdwa v74, v81, v74 dst_sel:DWORD dst_unused:UNUSED_PAD src0_sel:DWORD src1_sel:BYTE_1
	v_lshrrev_b16_e32 v134, 2, v74
	global_load_dwordx4 v[143:146], v68, s[12:13] offset:64
	v_mul_lo_u16_e32 v74, 7, v134
	v_sub_u16_e32 v135, v116, v74
	v_mul_u32_u24_sdwa v68, v135, v63 dst_sel:DWORD dst_unused:UNUSED_PAD src0_sel:BYTE_0 src1_sel:DWORD
	v_lshlrev_b32_e32 v68, 3, v68
	global_load_dwordx4 v[147:150], v68, s[12:13]
	global_load_dwordx4 v[151:154], v68, s[12:13] offset:16
	global_load_dwordx4 v[155:158], v68, s[12:13] offset:32
	v_mul_lo_u16_sdwa v74, v117, v52 dst_sel:DWORD dst_unused:UNUSED_PAD src0_sel:BYTE_0 src1_sel:DWORD
	v_sub_u16_sdwa v81, v117, v74 dst_sel:DWORD dst_unused:UNUSED_PAD src0_sel:DWORD src1_sel:BYTE_1
	v_lshrrev_b16_e32 v81, 1, v81
	v_and_b32_e32 v81, 0x7f, v81
	v_mul_lo_u16_sdwa v52, v118, v52 dst_sel:DWORD dst_unused:UNUSED_PAD src0_sel:BYTE_0 src1_sel:DWORD
	v_add_u16_sdwa v74, v81, v74 dst_sel:DWORD dst_unused:UNUSED_PAD src0_sel:DWORD src1_sel:BYTE_1
	v_sub_u16_sdwa v82, v118, v52 dst_sel:DWORD dst_unused:UNUSED_PAD src0_sel:DWORD src1_sel:BYTE_1
	v_lshrrev_b16_e32 v137, 2, v74
	v_mul_lo_u16_e32 v74, 7, v137
	v_sub_u16_e32 v138, v117, v74
	v_mul_u32_u24_sdwa v74, v138, v63 dst_sel:DWORD dst_unused:UNUSED_PAD src0_sel:BYTE_0 src1_sel:DWORD
	v_lshlrev_b32_e32 v74, 3, v74
	global_load_dwordx4 v[159:162], v68, s[12:13] offset:48
	global_load_dwordx4 v[163:166], v68, s[12:13] offset:64
	;; [unrolled: 1-line block ×5, first 2 shown]
	global_load_dwordx4 v[179:182], v74, s[12:13]
	s_mov_b32 s8, 0x3f575c64
	s_mov_b32 s9, 0x3ed4b147
	;; [unrolled: 1-line block ×5, first 2 shown]
	s_waitcnt vmcnt(13) lgkmcnt(14)
	v_mul_f32_e32 v129, v4, v55
	v_mul_f32_e32 v55, v25, v55
	v_fma_f32 v133, v4, v54, -v55
	v_lshrrev_b16_e32 v4, 1, v82
	v_and_b32_e32 v4, 0x7f, v4
	s_waitcnt vmcnt(12)
	v_mul_f32_e32 v124, v31, v59
	s_waitcnt vmcnt(10)
	v_mul_f32_e32 v83, v109, v142
	v_add_u16_sdwa v4, v4, v52 dst_sel:DWORD dst_unused:UNUSED_PAD src0_sel:DWORD src1_sel:BYTE_1
	v_mul_f32_e32 v59, v100, v59
	s_waitcnt lgkmcnt(12)
	v_mul_f32_e32 v90, v44, v142
	v_fmac_f32_e32 v124, v100, v58
	v_fma_f32 v100, v44, v141, -v83
	v_lshrrev_b16_e32 v44, 2, v4
	v_mul_f32_e32 v122, v46, v61
	v_mul_f32_e32 v61, v111, v61
	v_mul_lo_u16_e32 v4, 7, v44
	v_fmac_f32_e32 v122, v111, v60
	v_fma_f32 v111, v46, v60, -v61
	v_sub_u16_e32 v46, v118, v4
	v_mul_f32_e32 v126, v48, v57
	v_mul_f32_e32 v57, v113, v57
	v_mul_u32_u24_sdwa v4, v46, v63 dst_sel:DWORD dst_unused:UNUSED_PAD src0_sel:BYTE_0 src1_sel:DWORD
	v_mul_f32_e32 v89, v29, v140
	v_mul_f32_e32 v68, v96, v140
	s_waitcnt vmcnt(9)
	v_mul_f32_e32 v140, v86, v144
	s_waitcnt lgkmcnt(8)
	v_mul_f32_e32 v132, v38, v146
	v_mul_f32_e32 v142, v105, v146
	v_fmac_f32_e32 v129, v25, v54
	v_fmac_f32_e32 v126, v113, v56
	v_fma_f32 v128, v48, v56, -v57
	global_load_dwordx4 v[54:57], v74, s[12:13] offset:64
	v_lshlrev_b32_e32 v4, 3, v4
	v_fmac_f32_e32 v89, v96, v139
	v_fma_f32 v96, v29, v139, -v68
	v_fmac_f32_e32 v90, v109, v141
	v_fma_f32 v109, v17, v143, -v140
	;; [unrolled: 2-line block ×3, first 2 shown]
	global_load_dwordx4 v[139:142], v4, s[12:13]
	v_mul_f32_e32 v123, v23, v65
	v_mul_f32_e32 v84, v92, v65
	;; [unrolled: 1-line block ×3, first 2 shown]
	s_waitcnt vmcnt(10) lgkmcnt(7)
	v_mul_f32_e32 v81, v36, v148
	v_mul_f32_e32 v144, v103, v148
	;; [unrolled: 1-line block ×4, first 2 shown]
	v_fmac_f32_e32 v127, v86, v143
	v_fmac_f32_e32 v81, v103, v147
	v_fma_f32 v83, v36, v147, -v144
	v_fmac_f32_e32 v65, v114, v149
	v_fma_f32 v82, v49, v149, -v17
	global_load_dwordx4 v[143:146], v4, s[12:13] offset:32
	global_load_dwordx4 v[147:150], v4, s[12:13] offset:16
	v_mul_f32_e32 v125, v40, v67
	v_mul_f32_e32 v67, v107, v67
	s_waitcnt vmcnt(11)
	v_mul_f32_e32 v17, v101, v152
	v_fmac_f32_e32 v125, v107, v66
	v_fma_f32 v107, v40, v66, -v67
	s_waitcnt lgkmcnt(6)
	v_mul_f32_e32 v66, v34, v152
	v_fma_f32 v67, v34, v151, -v17
	v_mul_f32_e32 v60, v47, v154
	v_mul_f32_e32 v17, v112, v154
	v_fmac_f32_e32 v66, v101, v151
	v_fmac_f32_e32 v60, v112, v153
	v_fma_f32 v61, v47, v153, -v17
	s_waitcnt vmcnt(10)
	v_mul_f32_e32 v17, v97, v156
	global_load_dwordx4 v[151:154], v4, s[12:13] offset:48
	s_waitcnt lgkmcnt(5)
	v_mul_f32_e32 v34, v32, v156
	v_fma_f32 v36, v32, v155, -v17
	v_mul_f32_e32 v38, v45, v158
	v_mul_f32_e32 v17, v110, v158
	v_fmac_f32_e32 v34, v97, v155
	v_fmac_f32_e32 v38, v110, v157
	v_fma_f32 v40, v45, v157, -v17
	global_load_dwordx4 v[155:158], v4, s[12:13] offset:64
	s_waitcnt vmcnt(10)
	v_mul_f32_e32 v4, v87, v164
	s_waitcnt lgkmcnt(4)
	v_mul_f32_e32 v63, v26, v160
	s_waitcnt lgkmcnt(3)
	v_fma_f32 v86, v20, v163, -v4
	v_mul_f32_e32 v4, v106, v166
	v_fmac_f32_e32 v123, v92, v64
	v_fma_f32 v92, v23, v64, -v84
	v_fmac_f32_e32 v63, v93, v159
	v_mul_f32_e32 v17, v93, v160
	v_mul_f32_e32 v84, v20, v164
	v_fma_f32 v93, v39, v165, -v4
	s_waitcnt vmcnt(6)
	v_mul_f32_e32 v4, v104, v180
	v_fmac_f32_e32 v84, v87, v163
	v_mul_f32_e32 v87, v39, v166
	v_mul_f32_e32 v39, v37, v180
	v_fma_f32 v37, v37, v179, -v4
	v_mul_f32_e32 v4, v99, v182
	v_fma_f32 v64, v26, v159, -v17
	;; [unrolled: 2-line block ×4, first 2 shown]
	v_fma_f32 v74, v41, v161, -v17
	v_mul_f32_e32 v31, v30, v182
	v_fma_f32 v30, v35, v175, -v4
	v_mul_f32_e32 v4, v95, v178
	v_mul_f32_e32 v17, v98, v172
	;; [unrolled: 1-line block ×4, first 2 shown]
	v_fma_f32 v25, v28, v177, -v4
	v_mul_f32_e32 v4, v33, v172
	v_fma_f32 v17, v33, v171, -v17
	v_mul_f32_e32 v26, v91, v174
	v_mul_f32_e32 v28, v94, v168
	;; [unrolled: 1-line block ×5, first 2 shown]
	s_waitcnt vmcnt(5)
	v_mul_f32_e32 v35, v88, v55
	v_fma_f32 v22, v22, v173, -v26
	v_mul_f32_e32 v26, v27, v168
	v_fma_f32 v27, v27, v167, -v28
	;; [unrolled: 2-line block ×4, first 2 shown]
	s_waitcnt lgkmcnt(0)
	v_mul_f32_e32 v35, v51, v57
	v_mul_f32_e32 v41, v136, v57
	s_waitcnt vmcnt(4)
	v_mul_f32_e32 v57, v5, v140
	v_fmac_f32_e32 v57, v42, v139
	v_mul_f32_e32 v42, v42, v140
	v_fma_f32 v58, v5, v139, -v42
	v_mul_f32_e32 v5, v43, v142
	v_fma_f32 v55, v6, v141, -v5
	v_fmac_f32_e32 v33, v88, v54
	v_fma_f32 v41, v51, v56, -v41
	v_mul_f32_e32 v54, v6, v142
	v_fmac_f32_e32 v54, v43, v141
	s_waitcnt vmcnt(3)
	v_mul_f32_e32 v6, v77, v144
	s_waitcnt vmcnt(2)
	v_mul_f32_e32 v5, v79, v148
	v_fma_f32 v51, v18, v147, -v5
	v_mul_f32_e32 v5, v80, v150
	v_fma_f32 v47, v19, v149, -v5
	;; [unrolled: 2-line block ×4, first 2 shown]
	v_mul_f32_e32 v49, v18, v148
	v_mul_f32_e32 v42, v15, v146
	v_sub_f32_e32 v18, v133, v105
	v_fmac_f32_e32 v35, v136, v56
	v_mul_f32_e32 v45, v19, v150
	v_fmac_f32_e32 v42, v78, v145
	s_waitcnt vmcnt(1)
	v_mul_f32_e32 v14, v75, v152
	v_mul_f32_e32 v48, v12, v152
	v_fma_f32 v12, v12, v151, -v14
	v_mul_f32_e32 v14, v76, v154
	v_mul_f32_e32 v52, v13, v154
	v_fma_f32 v13, v13, v153, -v14
	v_fmac_f32_e32 v52, v76, v153
	v_mul_f32_e32 v19, 0xbf0a6770, v18
	s_waitcnt vmcnt(0)
	v_mul_f32_e32 v14, v72, v156
	v_mul_f32_e32 v59, v11, v158
	;; [unrolled: 1-line block ×3, first 2 shown]
	v_fma_f32 v10, v10, v155, -v14
	v_fmac_f32_e32 v59, v73, v157
	v_mul_f32_e32 v14, v73, v158
	v_mul_f32_e32 v73, 0xbf68dda4, v18
	;; [unrolled: 1-line block ×5, first 2 shown]
	v_fmac_f32_e32 v49, v79, v147
	v_fmac_f32_e32 v45, v80, v149
	;; [unrolled: 1-line block ×5, first 2 shown]
	v_add_f32_e32 v15, v129, v132
	v_mov_b32_e32 v72, v19
	v_mov_b32_e32 v75, v73
	;; [unrolled: 1-line block ×5, first 2 shown]
	v_fmac_f32_e32 v72, 0x3f575c64, v15
	v_fma_f32 v19, v15, s8, -v19
	v_fmac_f32_e32 v75, 0x3ed4b147, v15
	v_fma_f32 v73, v15, s9, -v73
	;; [unrolled: 2-line block ×5, first 2 shown]
	v_fma_f32 v11, v11, v157, -v14
	v_add_f32_e32 v14, v24, v129
	v_add_f32_e32 v72, v24, v72
	;; [unrolled: 1-line block ×11, first 2 shown]
	v_sub_f32_e32 v24, v128, v109
	v_fmac_f32_e32 v28, v85, v169
	v_add_f32_e32 v18, v126, v127
	v_mul_f32_e32 v85, 0xbf68dda4, v24
	v_mov_b32_e32 v88, v85
	v_fma_f32 v85, v18, s9, -v85
	v_fmac_f32_e32 v88, 0x3ed4b147, v18
	v_add_f32_e32 v19, v85, v19
	v_mul_f32_e32 v85, 0xbf4178ce, v24
	v_add_f32_e32 v72, v88, v72
	v_mov_b32_e32 v88, v85
	v_fma_f32 v85, v18, s15, -v85
	v_fmac_f32_e32 v88, 0xbf27a4f4, v18
	v_add_f32_e32 v73, v85, v73
	v_mul_f32_e32 v85, 0x3e903f40, v24
	v_add_f32_e32 v75, v88, v75
	v_mov_b32_e32 v88, v85
	v_fma_f32 v85, v18, s16, -v85
	v_fmac_f32_e32 v88, 0xbf75a155, v18
	v_add_f32_e32 v76, v85, v76
	v_mul_f32_e32 v85, 0x3f7d64f0, v24
	v_add_f32_e32 v77, v88, v77
	v_mov_b32_e32 v88, v85
	v_fma_f32 v85, v18, s14, -v85
	v_mul_f32_e32 v24, 0x3f0a6770, v24
	v_add_f32_e32 v78, v85, v78
	v_mov_b32_e32 v85, v24
	v_fmac_f32_e32 v88, 0xbe11bafb, v18
	v_fmac_f32_e32 v85, 0x3f575c64, v18
	v_fma_f32 v18, v18, s8, -v24
	v_sub_f32_e32 v24, v113, v107
	v_add_f32_e32 v80, v85, v80
	v_add_f32_e32 v15, v18, v15
	v_add_f32_e32 v18, v124, v125
	v_mul_f32_e32 v85, 0xbf7d64f0, v24
	v_add_f32_e32 v79, v88, v79
	v_mov_b32_e32 v88, v85
	v_fma_f32 v85, v18, s14, -v85
	v_fmac_f32_e32 v88, 0xbe11bafb, v18
	v_add_f32_e32 v19, v85, v19
	v_mul_f32_e32 v85, 0x3e903f40, v24
	v_add_f32_e32 v72, v88, v72
	v_mov_b32_e32 v88, v85
	v_fma_f32 v85, v18, s16, -v85
	v_fmac_f32_e32 v88, 0xbf75a155, v18
	v_add_f32_e32 v73, v85, v73
	v_mul_f32_e32 v85, 0x3f68dda4, v24
	v_add_f32_e32 v75, v88, v75
	v_mov_b32_e32 v88, v85
	v_fma_f32 v85, v18, s9, -v85
	v_fmac_f32_e32 v88, 0x3ed4b147, v18
	v_add_f32_e32 v76, v85, v76
	v_mul_f32_e32 v85, 0xbf0a6770, v24
	v_add_f32_e32 v77, v88, v77
	v_mov_b32_e32 v88, v85
	v_fma_f32 v85, v18, s8, -v85
	v_mul_f32_e32 v24, 0xbf4178ce, v24
	v_add_f32_e32 v78, v85, v78
	v_mov_b32_e32 v85, v24
	v_fmac_f32_e32 v88, 0x3f575c64, v18
	v_fmac_f32_e32 v85, 0xbf27a4f4, v18
	v_fma_f32 v18, v18, s15, -v24
	v_sub_f32_e32 v24, v111, v92
	v_add_f32_e32 v80, v85, v80
	v_add_f32_e32 v15, v18, v15
	v_add_f32_e32 v18, v122, v123
	v_mul_f32_e32 v85, 0xbf4178ce, v24
	v_add_f32_e32 v79, v88, v79
	;; [unrolled: 32-line block ×3, first 2 shown]
	v_mov_b32_e32 v88, v85
	v_fma_f32 v85, v18, s16, -v85
	v_fmac_f32_e32 v88, 0xbf75a155, v18
	v_add_f32_e32 v19, v85, v19
	v_mul_f32_e32 v85, 0x3f0a6770, v24
	v_add_f32_e32 v72, v88, v72
	v_mov_b32_e32 v88, v85
	v_fma_f32 v85, v18, s8, -v85
	v_fmac_f32_e32 v88, 0x3f575c64, v18
	v_add_f32_e32 v73, v85, v73
	v_mul_f32_e32 v85, 0xbf4178ce, v24
	v_add_f32_e32 v75, v88, v75
	;; [unrolled: 6-line block ×3, first 2 shown]
	v_mov_b32_e32 v88, v85
	v_fma_f32 v85, v18, s9, -v85
	v_mul_f32_e32 v24, 0xbf7d64f0, v24
	v_add_f32_e32 v78, v85, v78
	v_mov_b32_e32 v85, v24
	v_fmac_f32_e32 v88, 0x3ed4b147, v18
	v_fmac_f32_e32 v85, 0xbe11bafb, v18
	v_fma_f32 v18, v18, s14, -v24
	v_add_f32_e32 v18, v18, v15
	v_add_f32_e32 v15, v121, v81
	;; [unrolled: 1-line block ×7, first 2 shown]
	v_fmac_f32_e32 v68, v108, v161
	v_add_f32_e32 v15, v15, v63
	v_add_f32_e32 v85, v85, v80
	;; [unrolled: 1-line block ×3, first 2 shown]
	v_sub_f32_e32 v80, v83, v93
	v_fmac_f32_e32 v87, v106, v165
	v_fmac_f32_e32 v31, v99, v181
	;; [unrolled: 1-line block ×3, first 2 shown]
	v_add_f32_e32 v79, v88, v79
	v_add_f32_e32 v15, v15, v84
	v_mul_f32_e32 v88, 0xbf0a6770, v80
	v_mul_f32_e32 v94, 0xbf68dda4, v80
	;; [unrolled: 1-line block ×5, first 2 shown]
	v_fmac_f32_e32 v29, v102, v175
	v_fmac_f32_e32 v23, v95, v177
	;; [unrolled: 1-line block ×4, first 2 shown]
	v_add_f32_e32 v24, v15, v87
	v_add_f32_e32 v15, v81, v87
	v_mov_b32_e32 v91, v88
	v_mov_b32_e32 v95, v94
	;; [unrolled: 1-line block ×5, first 2 shown]
	v_sub_f32_e32 v103, v82, v86
	v_fmac_f32_e32 v39, v104, v179
	v_fmac_f32_e32 v91, 0x3f575c64, v15
	v_fma_f32 v88, v15, s8, -v88
	v_fmac_f32_e32 v95, 0x3ed4b147, v15
	v_fma_f32 v94, v15, s9, -v94
	;; [unrolled: 2-line block ×5, first 2 shown]
	v_add_f32_e32 v80, v65, v84
	v_mul_f32_e32 v104, 0xbf68dda4, v103
	v_add_f32_e32 v88, v121, v88
	v_mov_b32_e32 v106, v104
	v_fma_f32 v104, v80, s9, -v104
	v_add_f32_e32 v91, v121, v91
	v_fmac_f32_e32 v106, 0x3ed4b147, v80
	v_add_f32_e32 v88, v104, v88
	v_mul_f32_e32 v104, 0xbf4178ce, v103
	v_add_f32_e32 v94, v121, v94
	v_add_f32_e32 v91, v106, v91
	v_mov_b32_e32 v106, v104
	v_fma_f32 v104, v80, s15, -v104
	v_add_f32_e32 v95, v121, v95
	v_fmac_f32_e32 v106, 0xbf27a4f4, v80
	v_add_f32_e32 v94, v104, v94
	v_mul_f32_e32 v104, 0x3e903f40, v103
	v_add_f32_e32 v97, v121, v97
	;; [unrolled: 8-line block ×3, first 2 shown]
	v_add_f32_e32 v98, v106, v98
	v_mov_b32_e32 v106, v104
	v_fma_f32 v104, v80, s14, -v104
	v_mul_f32_e32 v103, 0x3f0a6770, v103
	v_add_f32_e32 v99, v104, v99
	v_mov_b32_e32 v104, v103
	v_add_f32_e32 v102, v121, v102
	v_add_f32_e32 v15, v121, v15
	v_fmac_f32_e32 v106, 0xbe11bafb, v80
	v_fmac_f32_e32 v104, 0x3f575c64, v80
	v_fma_f32 v80, v80, s8, -v103
	v_sub_f32_e32 v103, v67, v74
	v_add_f32_e32 v101, v121, v101
	v_add_f32_e32 v102, v104, v102
	;; [unrolled: 1-line block ×4, first 2 shown]
	v_mul_f32_e32 v104, 0xbf7d64f0, v103
	v_add_f32_e32 v101, v106, v101
	v_mov_b32_e32 v106, v104
	v_fma_f32 v104, v80, s14, -v104
	v_fmac_f32_e32 v106, 0xbe11bafb, v80
	v_add_f32_e32 v88, v104, v88
	v_mul_f32_e32 v104, 0x3e903f40, v103
	v_add_f32_e32 v91, v106, v91
	v_mov_b32_e32 v106, v104
	v_fma_f32 v104, v80, s16, -v104
	v_fmac_f32_e32 v106, 0xbf75a155, v80
	v_add_f32_e32 v94, v104, v94
	;; [unrolled: 6-line block ×3, first 2 shown]
	v_mul_f32_e32 v104, 0xbf0a6770, v103
	v_add_f32_e32 v98, v106, v98
	v_mov_b32_e32 v106, v104
	v_fma_f32 v104, v80, s8, -v104
	v_mul_f32_e32 v103, 0xbf4178ce, v103
	v_add_f32_e32 v99, v104, v99
	v_mov_b32_e32 v104, v103
	v_fmac_f32_e32 v106, 0x3f575c64, v80
	v_fmac_f32_e32 v104, 0xbf27a4f4, v80
	v_fma_f32 v80, v80, s15, -v103
	v_sub_f32_e32 v103, v61, v64
	v_add_f32_e32 v102, v104, v102
	v_add_f32_e32 v15, v80, v15
	;; [unrolled: 1-line block ×3, first 2 shown]
	v_mul_f32_e32 v104, 0xbf4178ce, v103
	v_add_f32_e32 v101, v106, v101
	v_mov_b32_e32 v106, v104
	v_fma_f32 v104, v80, s15, -v104
	v_fmac_f32_e32 v106, 0xbf27a4f4, v80
	v_add_f32_e32 v88, v104, v88
	v_mul_f32_e32 v104, 0x3f7d64f0, v103
	v_add_f32_e32 v91, v106, v91
	v_mov_b32_e32 v106, v104
	v_fma_f32 v104, v80, s14, -v104
	v_fmac_f32_e32 v106, 0xbe11bafb, v80
	v_add_f32_e32 v94, v104, v94
	;; [unrolled: 6-line block ×3, first 2 shown]
	v_mul_f32_e32 v104, 0xbe903f40, v103
	v_add_f32_e32 v98, v106, v98
	v_mov_b32_e32 v106, v104
	v_fma_f32 v104, v80, s16, -v104
	v_mul_f32_e32 v103, 0x3f68dda4, v103
	v_add_f32_e32 v99, v104, v99
	v_mov_b32_e32 v104, v103
	v_fmac_f32_e32 v106, 0xbf75a155, v80
	v_fmac_f32_e32 v104, 0x3ed4b147, v80
	v_fma_f32 v80, v80, s9, -v103
	v_sub_f32_e32 v103, v36, v40
	v_add_f32_e32 v102, v104, v102
	v_add_f32_e32 v15, v80, v15
	;; [unrolled: 1-line block ×3, first 2 shown]
	v_mul_f32_e32 v104, 0xbe903f40, v103
	v_add_f32_e32 v101, v106, v101
	v_mov_b32_e32 v106, v104
	v_fma_f32 v104, v80, s16, -v104
	v_fmac_f32_e32 v106, 0xbf75a155, v80
	v_add_f32_e32 v88, v104, v88
	v_mul_f32_e32 v104, 0x3f0a6770, v103
	v_add_f32_e32 v91, v106, v91
	v_mov_b32_e32 v106, v104
	v_fma_f32 v104, v80, s8, -v104
	v_fmac_f32_e32 v106, 0x3f575c64, v80
	v_add_f32_e32 v94, v104, v94
	;; [unrolled: 6-line block ×3, first 2 shown]
	v_mul_f32_e32 v104, 0x3f68dda4, v103
	v_add_f32_e32 v98, v106, v98
	v_mov_b32_e32 v106, v104
	v_fma_f32 v104, v80, s9, -v104
	v_mul_f32_e32 v103, 0xbf7d64f0, v103
	v_add_f32_e32 v99, v104, v99
	v_mov_b32_e32 v104, v103
	v_fmac_f32_e32 v106, 0x3ed4b147, v80
	v_fmac_f32_e32 v104, 0xbe11bafb, v80
	v_fma_f32 v80, v80, s14, -v103
	v_add_f32_e32 v103, v80, v15
	v_add_f32_e32 v15, v120, v39
	;; [unrolled: 1-line block ×9, first 2 shown]
	v_sub_f32_e32 v80, v37, v41
	v_add_f32_e32 v101, v106, v101
	v_add_f32_e32 v15, v15, v33
	v_mul_f32_e32 v106, 0xbf0a6770, v80
	v_mul_f32_e32 v110, 0xbf68dda4, v80
	;; [unrolled: 1-line block ×5, first 2 shown]
	v_add_f32_e32 v102, v104, v102
	v_add_f32_e32 v104, v15, v35
	;; [unrolled: 1-line block ×3, first 2 shown]
	v_mov_b32_e32 v108, v106
	v_mov_b32_e32 v112, v110
	;; [unrolled: 1-line block ×5, first 2 shown]
	v_fmac_f32_e32 v108, 0x3f575c64, v15
	v_fma_f32 v106, v15, s8, -v106
	v_fmac_f32_e32 v112, 0x3ed4b147, v15
	v_fma_f32 v110, v15, s9, -v110
	;; [unrolled: 2-line block ×5, first 2 shown]
	v_add_f32_e32 v108, v120, v108
	v_add_f32_e32 v106, v120, v106
	;; [unrolled: 1-line block ×10, first 2 shown]
	v_sub_f32_e32 v120, v32, v21
	v_add_f32_e32 v80, v31, v33
	v_mul_f32_e32 v141, 0xbf68dda4, v120
	v_mov_b32_e32 v142, v141
	v_fma_f32 v141, v80, s9, -v141
	v_fmac_f32_e32 v142, 0x3ed4b147, v80
	v_add_f32_e32 v106, v141, v106
	v_mul_f32_e32 v141, 0xbf4178ce, v120
	v_add_f32_e32 v108, v142, v108
	v_mov_b32_e32 v142, v141
	v_fma_f32 v141, v80, s15, -v141
	v_fmac_f32_e32 v142, 0xbf27a4f4, v80
	v_add_f32_e32 v110, v141, v110
	v_mul_f32_e32 v141, 0x3e903f40, v120
	v_add_f32_e32 v112, v142, v112
	v_mov_b32_e32 v142, v141
	v_fma_f32 v141, v80, s16, -v141
	v_fmac_f32_e32 v142, 0xbf75a155, v80
	v_add_f32_e32 v114, v141, v114
	v_mul_f32_e32 v141, 0x3f7d64f0, v120
	v_add_f32_e32 v121, v142, v121
	v_mov_b32_e32 v142, v141
	v_fma_f32 v141, v80, s14, -v141
	v_mul_f32_e32 v120, 0x3f0a6770, v120
	v_add_f32_e32 v136, v141, v136
	v_mov_b32_e32 v141, v120
	v_fmac_f32_e32 v142, 0xbe11bafb, v80
	v_fmac_f32_e32 v141, 0x3f575c64, v80
	v_fma_f32 v80, v80, s8, -v120
	v_sub_f32_e32 v120, v30, v16
	v_add_f32_e32 v140, v141, v140
	v_add_f32_e32 v15, v80, v15
	v_add_f32_e32 v80, v29, v28
	v_mul_f32_e32 v141, 0xbf7d64f0, v120
	v_add_f32_e32 v139, v142, v139
	v_mov_b32_e32 v142, v141
	v_fma_f32 v141, v80, s14, -v141
	v_fmac_f32_e32 v142, 0xbe11bafb, v80
	v_add_f32_e32 v106, v141, v106
	v_mul_f32_e32 v141, 0x3e903f40, v120
	v_add_f32_e32 v108, v142, v108
	v_mov_b32_e32 v142, v141
	v_fma_f32 v141, v80, s16, -v141
	v_fmac_f32_e32 v142, 0xbf75a155, v80
	v_add_f32_e32 v110, v141, v110
	v_mul_f32_e32 v141, 0x3f68dda4, v120
	v_add_f32_e32 v112, v142, v112
	v_mov_b32_e32 v142, v141
	v_fma_f32 v141, v80, s9, -v141
	v_fmac_f32_e32 v142, 0x3ed4b147, v80
	v_add_f32_e32 v114, v141, v114
	v_mul_f32_e32 v141, 0xbf0a6770, v120
	v_add_f32_e32 v121, v142, v121
	v_mov_b32_e32 v142, v141
	v_fma_f32 v141, v80, s8, -v141
	v_mul_f32_e32 v120, 0xbf4178ce, v120
	v_add_f32_e32 v136, v141, v136
	v_mov_b32_e32 v141, v120
	v_fmac_f32_e32 v142, 0x3f575c64, v80
	v_fmac_f32_e32 v141, 0xbf27a4f4, v80
	v_fma_f32 v80, v80, s15, -v120
	v_sub_f32_e32 v120, v25, v27
	v_add_f32_e32 v140, v141, v140
	v_add_f32_e32 v15, v80, v15
	v_add_f32_e32 v80, v23, v26
	v_mul_f32_e32 v141, 0xbf4178ce, v120
	v_add_f32_e32 v139, v142, v139
	;; [unrolled: 32-line block ×3, first 2 shown]
	v_mov_b32_e32 v142, v141
	v_fma_f32 v141, v80, s16, -v141
	v_fmac_f32_e32 v142, 0xbf75a155, v80
	v_add_f32_e32 v106, v141, v106
	v_mul_f32_e32 v141, 0x3f0a6770, v120
	v_add_f32_e32 v108, v142, v108
	v_mov_b32_e32 v142, v141
	v_fma_f32 v141, v80, s8, -v141
	v_add_f32_e32 v14, v14, v126
	v_fmac_f32_e32 v142, 0x3f575c64, v80
	v_add_f32_e32 v110, v141, v110
	v_mul_f32_e32 v141, 0xbf4178ce, v120
	v_add_f32_e32 v14, v14, v124
	v_add_f32_e32 v112, v142, v112
	v_mov_b32_e32 v142, v141
	v_fma_f32 v141, v80, s15, -v141
	v_add_f32_e32 v14, v14, v122
	v_fmac_f32_e32 v142, 0xbf27a4f4, v80
	v_add_f32_e32 v114, v141, v114
	v_mul_f32_e32 v141, 0x3f68dda4, v120
	v_add_f32_e32 v14, v14, v89
	v_add_f32_e32 v121, v142, v121
	v_mov_b32_e32 v142, v141
	v_fma_f32 v141, v80, s9, -v141
	v_mul_f32_e32 v120, 0xbf7d64f0, v120
	v_add_f32_e32 v14, v14, v90
	v_add_f32_e32 v136, v141, v136
	v_mov_b32_e32 v141, v120
	v_add_f32_e32 v14, v14, v123
	v_fmac_f32_e32 v142, 0x3ed4b147, v80
	v_fmac_f32_e32 v141, 0xbe11bafb, v80
	v_fma_f32 v80, v80, s14, -v120
	v_add_f32_e32 v14, v14, v125
	v_add_f32_e32 v120, v80, v15
	v_mov_b32_e32 v15, 2
	v_add_f32_e32 v14, v14, v127
	v_mul_u32_u24_e32 v80, 0x134, v130
	v_lshlrev_b32_sdwa v130, v15, v131 dst_sel:DWORD dst_unused:UNUSED_PAD src0_sel:DWORD src1_sel:BYTE_0
	v_add_f32_e32 v14, v14, v132
	v_add3_u32 v80, 0, v80, v130
	s_waitcnt lgkmcnt(0)
	; wave barrier
	ds_write2_b32 v80, v14, v72 offset1:7
	ds_write2_b32 v80, v75, v77 offset0:14 offset1:21
	ds_write2_b32 v80, v79, v85 offset0:28 offset1:35
	;; [unrolled: 1-line block ×4, first 2 shown]
	ds_write_b32 v80, v19 offset:280
	v_mul_u32_u24_e32 v14, 0x134, v134
	v_lshlrev_b32_sdwa v18, v15, v135 dst_sel:DWORD dst_unused:UNUSED_PAD src0_sel:DWORD src1_sel:BYTE_0
	v_add3_u32 v85, 0, v14, v18
	v_mul_u32_u24_e32 v14, 0x134, v137
	v_lshlrev_b32_sdwa v18, v15, v138 dst_sel:DWORD dst_unused:UNUSED_PAD src0_sel:DWORD src1_sel:BYTE_0
	ds_write2_b32 v85, v24, v91 offset1:7
	ds_write2_b32 v85, v95, v98 offset0:14 offset1:21
	ds_write2_b32 v85, v101, v102 offset0:28 offset1:35
	;; [unrolled: 1-line block ×4, first 2 shown]
	ds_write_b32 v85, v88 offset:280
	v_add3_u32 v88, 0, v14, v18
	v_add_f32_e32 v139, v142, v139
	v_add_f32_e32 v140, v141, v140
	ds_write2_b32 v88, v104, v108 offset1:7
	ds_write2_b32 v88, v112, v121 offset0:14 offset1:21
	ds_write2_b32 v88, v139, v140 offset0:28 offset1:35
	;; [unrolled: 1-line block ×4, first 2 shown]
	ds_write_b32 v88, v106 offset:280
	s_and_saveexec_b64 s[6:7], s[0:1]
	s_cbranch_execz .LBB0_19
; %bb.18:
	v_sub_f32_e32 v18, v58, v11
	v_add_f32_e32 v14, v57, v59
	v_mul_f32_e32 v19, 0xbe903f40, v18
	v_sub_f32_e32 v73, v55, v10
	v_fma_f32 v24, v14, s16, -v19
	v_add_f32_e32 v72, v54, v56
	v_mul_f32_e32 v75, 0x3f0a6770, v73
	v_add_f32_e32 v24, v62, v24
	v_fma_f32 v76, v72, s8, -v75
	v_sub_f32_e32 v77, v51, v13
	v_add_f32_e32 v24, v76, v24
	v_add_f32_e32 v76, v49, v52
	v_mul_f32_e32 v78, 0xbf4178ce, v77
	v_fma_f32 v79, v76, s15, -v78
	v_sub_f32_e32 v91, v47, v12
	v_fmac_f32_e32 v19, 0xbf75a155, v14
	v_add_f32_e32 v24, v79, v24
	v_add_f32_e32 v79, v45, v48
	v_mul_f32_e32 v94, 0x3f68dda4, v91
	v_add_f32_e32 v19, v62, v19
	v_fmac_f32_e32 v75, 0x3f575c64, v72
	v_fma_f32 v95, v79, s9, -v94
	v_sub_f32_e32 v97, v6, v43
	v_add_f32_e32 v19, v75, v19
	v_fmac_f32_e32 v78, 0xbf27a4f4, v76
	v_add_f32_e32 v24, v95, v24
	v_add_f32_e32 v95, v5, v42
	v_mul_f32_e32 v98, 0xbf7d64f0, v97
	v_add_f32_e32 v19, v78, v19
	v_fmac_f32_e32 v94, 0x3ed4b147, v79
	v_mul_f32_e32 v75, 0xbf4178ce, v18
	v_fma_f32 v99, v95, s14, -v98
	v_add_f32_e32 v19, v94, v19
	v_fmac_f32_e32 v98, 0xbe11bafb, v95
	v_fma_f32 v78, v14, s15, -v75
	v_mul_f32_e32 v94, 0x3f7d64f0, v73
	v_add_f32_e32 v19, v98, v19
	v_add_f32_e32 v78, v62, v78
	v_fma_f32 v98, v72, s14, -v94
	v_add_f32_e32 v78, v98, v78
	v_mul_f32_e32 v98, 0xbf0a6770, v77
	v_add_f32_e32 v24, v99, v24
	v_fma_f32 v99, v76, s8, -v98
	v_fmac_f32_e32 v75, 0xbf27a4f4, v14
	v_add_f32_e32 v78, v99, v78
	v_mul_f32_e32 v99, 0xbe903f40, v91
	v_add_f32_e32 v75, v62, v75
	v_fmac_f32_e32 v94, 0xbe11bafb, v72
	v_fma_f32 v101, v79, s16, -v99
	v_add_f32_e32 v75, v94, v75
	v_fmac_f32_e32 v98, 0x3f575c64, v76
	v_add_f32_e32 v78, v101, v78
	v_mul_f32_e32 v101, 0x3f68dda4, v97
	v_add_f32_e32 v75, v98, v75
	v_fmac_f32_e32 v99, 0xbf75a155, v79
	v_mul_f32_e32 v94, 0xbf7d64f0, v18
	v_fma_f32 v102, v95, s9, -v101
	v_add_f32_e32 v75, v99, v75
	v_fmac_f32_e32 v101, 0x3ed4b147, v95
	v_fma_f32 v98, v14, s14, -v94
	v_mul_f32_e32 v99, 0x3e903f40, v73
	v_add_f32_e32 v75, v101, v75
	v_add_f32_e32 v98, v62, v98
	v_fma_f32 v101, v72, s16, -v99
	v_add_f32_e32 v98, v101, v98
	v_mul_f32_e32 v101, 0x3f68dda4, v77
	v_add_f32_e32 v78, v102, v78
	v_fma_f32 v102, v76, s9, -v101
	v_fmac_f32_e32 v94, 0xbe11bafb, v14
	v_add_f32_e32 v98, v102, v98
	v_mul_f32_e32 v102, 0xbf0a6770, v91
	v_add_f32_e32 v94, v62, v94
	v_fmac_f32_e32 v99, 0xbf75a155, v72
	v_fma_f32 v103, v79, s8, -v102
	v_add_f32_e32 v94, v99, v94
	v_fmac_f32_e32 v101, 0x3ed4b147, v76
	v_add_f32_e32 v98, v103, v98
	v_mul_f32_e32 v103, 0xbf4178ce, v97
	v_add_f32_e32 v94, v101, v94
	v_fmac_f32_e32 v102, 0x3f575c64, v79
	v_mul_f32_e32 v99, 0xbf68dda4, v18
	v_fma_f32 v104, v95, s15, -v103
	v_add_f32_e32 v94, v102, v94
	v_fmac_f32_e32 v103, 0xbf27a4f4, v95
	v_fma_f32 v101, v14, s9, -v99
	v_mul_f32_e32 v102, 0xbf4178ce, v73
	v_fmac_f32_e32 v99, 0x3ed4b147, v14
	v_add_f32_e32 v94, v103, v94
	v_fma_f32 v103, v72, s15, -v102
	v_add_f32_e32 v99, v62, v99
	v_fmac_f32_e32 v102, 0xbf27a4f4, v72
	v_mul_f32_e32 v18, 0xbf0a6770, v18
	v_add_f32_e32 v99, v102, v99
	v_fma_f32 v102, v14, s8, -v18
	v_fmac_f32_e32 v18, 0x3f575c64, v14
	v_add_f32_e32 v14, v62, v18
	v_add_f32_e32 v18, v62, v57
	;; [unrolled: 1-line block ×6, first 2 shown]
	v_mul_f32_e32 v103, 0x3e903f40, v77
	v_add_f32_e32 v18, v18, v45
	v_add_f32_e32 v98, v104, v98
	v_fma_f32 v104, v76, s16, -v103
	v_fmac_f32_e32 v103, 0xbf75a155, v76
	v_mul_f32_e32 v73, 0xbf68dda4, v73
	v_add_f32_e32 v18, v18, v5
	v_add_f32_e32 v101, v104, v101
	v_mul_f32_e32 v104, 0x3f7d64f0, v91
	v_add_f32_e32 v99, v103, v99
	v_add_f32_e32 v102, v62, v102
	v_fma_f32 v103, v72, s9, -v73
	v_mul_f32_e32 v77, 0xbf7d64f0, v77
	v_fmac_f32_e32 v73, 0x3ed4b147, v72
	v_add_f32_e32 v18, v18, v42
	v_fma_f32 v106, v79, s14, -v104
	v_add_f32_e32 v102, v103, v102
	v_fma_f32 v103, v76, s14, -v77
	v_mul_f32_e32 v91, 0xbf4178ce, v91
	v_add_f32_e32 v14, v73, v14
	v_fmac_f32_e32 v77, 0xbe11bafb, v76
	v_add_f32_e32 v18, v18, v48
	v_add_f32_e32 v101, v106, v101
	v_mul_f32_e32 v106, 0x3f0a6770, v97
	v_add_f32_e32 v102, v103, v102
	v_fma_f32 v103, v79, s15, -v91
	v_mul_f32_e32 v97, 0xbe903f40, v97
	v_add_f32_e32 v14, v77, v14
	v_fmac_f32_e32 v91, 0xbf27a4f4, v79
	v_add_f32_e32 v18, v18, v52
	v_fmac_f32_e32 v104, 0xbe11bafb, v79
	v_add_f32_e32 v102, v103, v102
	v_fma_f32 v103, v95, s16, -v97
	v_add_f32_e32 v14, v91, v14
	v_fmac_f32_e32 v97, 0xbf75a155, v95
	v_add_f32_e32 v18, v18, v56
	v_mul_u32_u24_e32 v62, 0x134, v44
	v_lshlrev_b32_sdwa v15, v15, v46 dst_sel:DWORD dst_unused:UNUSED_PAD src0_sel:DWORD src1_sel:BYTE_0
	v_fma_f32 v108, v95, s8, -v106
	v_add_f32_e32 v99, v104, v99
	v_fmac_f32_e32 v106, 0x3f575c64, v95
	v_add_f32_e32 v14, v97, v14
	v_add_f32_e32 v18, v18, v59
	v_add3_u32 v15, 0, v62, v15
	v_add_f32_e32 v101, v108, v101
	v_add_f32_e32 v99, v106, v99
	;; [unrolled: 1-line block ×3, first 2 shown]
	ds_write2_b32 v15, v18, v14 offset1:7
	ds_write2_b32 v15, v99, v94 offset0:14 offset1:21
	ds_write2_b32 v15, v75, v19 offset0:28 offset1:35
	;; [unrolled: 1-line block ×4, first 2 shown]
	ds_write_b32 v15, v102 offset:280
.LBB0_19:
	s_or_b64 exec, exec, s[6:7]
	v_add_f32_e32 v14, v3, v133
	v_add_f32_e32 v14, v14, v128
	;; [unrolled: 1-line block ×11, first 2 shown]
	v_mul_f32_e32 v18, 0x3f575c64, v14
	v_mul_f32_e32 v24, 0x3ed4b147, v14
	;; [unrolled: 1-line block ×5, first 2 shown]
	v_sub_f32_e32 v15, v129, v132
	v_mov_b32_e32 v19, v18
	v_mov_b32_e32 v62, v24
	;; [unrolled: 1-line block ×5, first 2 shown]
	v_fmac_f32_e32 v19, 0x3f0a6770, v15
	v_fmac_f32_e32 v18, 0xbf0a6770, v15
	v_fmac_f32_e32 v62, 0x3f68dda4, v15
	v_fmac_f32_e32 v24, 0xbf68dda4, v15
	v_fmac_f32_e32 v73, 0x3f7d64f0, v15
	v_fmac_f32_e32 v72, 0xbf7d64f0, v15
	v_fmac_f32_e32 v76, 0x3f4178ce, v15
	v_fmac_f32_e32 v75, 0xbf4178ce, v15
	v_fmac_f32_e32 v77, 0x3e903f40, v15
	v_fmac_f32_e32 v14, 0xbe903f40, v15
	v_add_f32_e32 v19, v3, v19
	v_add_f32_e32 v18, v3, v18
	;; [unrolled: 1-line block ×11, first 2 shown]
	v_sub_f32_e32 v15, v126, v127
	v_mul_f32_e32 v78, 0x3ed4b147, v14
	v_mov_b32_e32 v79, v78
	v_fmac_f32_e32 v78, 0xbf68dda4, v15
	v_fmac_f32_e32 v79, 0x3f68dda4, v15
	v_add_f32_e32 v18, v78, v18
	v_mul_f32_e32 v78, 0xbf27a4f4, v14
	v_add_f32_e32 v19, v79, v19
	v_mov_b32_e32 v79, v78
	v_fmac_f32_e32 v78, 0xbf4178ce, v15
	v_fmac_f32_e32 v79, 0x3f4178ce, v15
	v_add_f32_e32 v24, v78, v24
	v_mul_f32_e32 v78, 0xbf75a155, v14
	v_add_f32_e32 v62, v79, v62
	v_mov_b32_e32 v79, v78
	v_fmac_f32_e32 v78, 0x3e903f40, v15
	v_fmac_f32_e32 v79, 0xbe903f40, v15
	v_add_f32_e32 v72, v78, v72
	v_mul_f32_e32 v78, 0xbe11bafb, v14
	v_add_f32_e32 v73, v79, v73
	v_mov_b32_e32 v79, v78
	v_fmac_f32_e32 v78, 0x3f7d64f0, v15
	v_mul_f32_e32 v14, 0x3f575c64, v14
	v_add_f32_e32 v75, v78, v75
	v_mov_b32_e32 v78, v14
	v_fmac_f32_e32 v14, 0x3f0a6770, v15
	v_fmac_f32_e32 v78, 0xbf0a6770, v15
	v_add_f32_e32 v3, v14, v3
	v_add_f32_e32 v14, v113, v107
	v_fmac_f32_e32 v79, 0xbf7d64f0, v15
	v_add_f32_e32 v77, v78, v77
	v_sub_f32_e32 v15, v124, v125
	v_mul_f32_e32 v78, 0xbe11bafb, v14
	v_add_f32_e32 v76, v79, v76
	v_mov_b32_e32 v79, v78
	v_fmac_f32_e32 v78, 0xbf7d64f0, v15
	v_fmac_f32_e32 v79, 0x3f7d64f0, v15
	v_add_f32_e32 v18, v78, v18
	v_mul_f32_e32 v78, 0xbf75a155, v14
	v_add_f32_e32 v19, v79, v19
	v_mov_b32_e32 v79, v78
	v_fmac_f32_e32 v78, 0x3e903f40, v15
	v_fmac_f32_e32 v79, 0xbe903f40, v15
	v_add_f32_e32 v24, v78, v24
	v_mul_f32_e32 v78, 0x3ed4b147, v14
	v_add_f32_e32 v62, v79, v62
	v_mov_b32_e32 v79, v78
	v_fmac_f32_e32 v78, 0x3f68dda4, v15
	v_fmac_f32_e32 v79, 0xbf68dda4, v15
	v_add_f32_e32 v72, v78, v72
	v_mul_f32_e32 v78, 0x3f575c64, v14
	v_add_f32_e32 v73, v79, v73
	v_mov_b32_e32 v79, v78
	v_fmac_f32_e32 v78, 0xbf0a6770, v15
	v_mul_f32_e32 v14, 0xbf27a4f4, v14
	v_add_f32_e32 v75, v78, v75
	v_mov_b32_e32 v78, v14
	v_fmac_f32_e32 v14, 0xbf4178ce, v15
	v_fmac_f32_e32 v78, 0x3f4178ce, v15
	v_add_f32_e32 v3, v14, v3
	v_add_f32_e32 v14, v111, v92
	v_fmac_f32_e32 v79, 0x3f0a6770, v15
	v_add_f32_e32 v77, v78, v77
	v_sub_f32_e32 v15, v122, v123
	v_mul_f32_e32 v78, 0xbf27a4f4, v14
	v_add_f32_e32 v76, v79, v76
	;; [unrolled: 32-line block ×3, first 2 shown]
	v_mov_b32_e32 v79, v78
	v_fmac_f32_e32 v78, 0xbe903f40, v15
	v_fmac_f32_e32 v79, 0x3e903f40, v15
	v_add_f32_e32 v90, v78, v18
	v_mul_f32_e32 v18, 0x3f575c64, v14
	v_add_f32_e32 v89, v79, v19
	v_mov_b32_e32 v19, v18
	v_fmac_f32_e32 v18, 0x3f0a6770, v15
	v_fmac_f32_e32 v19, 0xbf0a6770, v15
	v_add_f32_e32 v94, v18, v24
	v_mul_f32_e32 v18, 0xbf27a4f4, v14
	v_add_f32_e32 v92, v19, v62
	;; [unrolled: 6-line block ×3, first 2 shown]
	v_mov_b32_e32 v19, v18
	v_fmac_f32_e32 v18, 0x3f68dda4, v15
	v_mul_f32_e32 v14, 0xbe11bafb, v14
	v_add_f32_e32 v98, v18, v75
	v_mov_b32_e32 v18, v14
	v_fmac_f32_e32 v14, 0xbf7d64f0, v15
	v_add_f32_e32 v100, v14, v3
	v_add_f32_e32 v3, v53, v83
	;; [unrolled: 1-line block ×10, first 2 shown]
	v_fmac_f32_e32 v19, 0xbf68dda4, v15
	v_add_f32_e32 v101, v3, v93
	v_add_f32_e32 v3, v83, v93
	;; [unrolled: 1-line block ×3, first 2 shown]
	v_fmac_f32_e32 v18, 0x3f7d64f0, v15
	v_mul_f32_e32 v15, 0x3f575c64, v3
	v_mul_f32_e32 v19, 0x3ed4b147, v3
	;; [unrolled: 1-line block ×5, first 2 shown]
	v_add_f32_e32 v99, v18, v77
	v_sub_f32_e32 v14, v81, v87
	v_mov_b32_e32 v18, v15
	v_mov_b32_e32 v24, v19
	;; [unrolled: 1-line block ×5, first 2 shown]
	v_fmac_f32_e32 v18, 0x3f0a6770, v14
	v_fmac_f32_e32 v15, 0xbf0a6770, v14
	v_fmac_f32_e32 v24, 0x3f68dda4, v14
	v_fmac_f32_e32 v19, 0xbf68dda4, v14
	v_fmac_f32_e32 v72, 0x3f7d64f0, v14
	v_fmac_f32_e32 v62, 0xbf7d64f0, v14
	v_fmac_f32_e32 v75, 0x3f4178ce, v14
	v_fmac_f32_e32 v73, 0xbf4178ce, v14
	v_fmac_f32_e32 v76, 0x3e903f40, v14
	v_fmac_f32_e32 v3, 0xbe903f40, v14
	v_add_f32_e32 v14, v82, v86
	v_add_f32_e32 v18, v53, v18
	;; [unrolled: 1-line block ×11, first 2 shown]
	v_sub_f32_e32 v53, v65, v84
	v_mul_f32_e32 v65, 0x3ed4b147, v14
	v_mov_b32_e32 v77, v65
	v_fmac_f32_e32 v65, 0xbf68dda4, v53
	v_fmac_f32_e32 v77, 0x3f68dda4, v53
	v_add_f32_e32 v15, v65, v15
	v_mul_f32_e32 v65, 0xbf27a4f4, v14
	v_add_f32_e32 v18, v77, v18
	v_mov_b32_e32 v77, v65
	v_fmac_f32_e32 v65, 0xbf4178ce, v53
	v_fmac_f32_e32 v77, 0x3f4178ce, v53
	v_add_f32_e32 v19, v65, v19
	v_mul_f32_e32 v65, 0xbf75a155, v14
	v_add_f32_e32 v24, v77, v24
	;; [unrolled: 6-line block ×3, first 2 shown]
	v_mov_b32_e32 v77, v65
	v_fmac_f32_e32 v65, 0x3f7d64f0, v53
	v_mul_f32_e32 v14, 0x3f575c64, v14
	v_add_f32_e32 v65, v65, v73
	v_mov_b32_e32 v73, v14
	v_fmac_f32_e32 v14, 0x3f0a6770, v53
	v_add_f32_e32 v3, v14, v3
	v_add_f32_e32 v14, v67, v74
	v_fmac_f32_e32 v77, 0xbf7d64f0, v53
	v_fmac_f32_e32 v73, 0xbf0a6770, v53
	v_sub_f32_e32 v53, v66, v68
	v_mul_f32_e32 v66, 0xbe11bafb, v14
	v_mov_b32_e32 v67, v66
	v_fmac_f32_e32 v66, 0xbf7d64f0, v53
	v_fmac_f32_e32 v67, 0x3f7d64f0, v53
	v_add_f32_e32 v15, v66, v15
	v_mul_f32_e32 v66, 0xbf75a155, v14
	v_add_f32_e32 v18, v67, v18
	v_mov_b32_e32 v67, v66
	v_fmac_f32_e32 v66, 0x3e903f40, v53
	v_fmac_f32_e32 v67, 0xbe903f40, v53
	v_add_f32_e32 v19, v66, v19
	v_mul_f32_e32 v66, 0x3ed4b147, v14
	v_add_f32_e32 v24, v67, v24
	v_mov_b32_e32 v67, v66
	v_fmac_f32_e32 v66, 0x3f68dda4, v53
	v_add_f32_e32 v62, v66, v62
	v_mul_f32_e32 v66, 0x3f575c64, v14
	v_mov_b32_e32 v68, v66
	v_fmac_f32_e32 v66, 0xbf0a6770, v53
	v_mul_f32_e32 v14, 0xbf27a4f4, v14
	v_add_f32_e32 v65, v66, v65
	v_mov_b32_e32 v66, v14
	v_fmac_f32_e32 v14, 0xbf4178ce, v53
	v_add_f32_e32 v3, v14, v3
	v_add_f32_e32 v14, v61, v64
	v_fmac_f32_e32 v67, 0xbf68dda4, v53
	v_fmac_f32_e32 v68, 0x3f0a6770, v53
	v_fmac_f32_e32 v66, 0x3f4178ce, v53
	v_sub_f32_e32 v53, v60, v63
	v_mul_f32_e32 v60, 0xbf27a4f4, v14
	v_mov_b32_e32 v61, v60
	v_fmac_f32_e32 v60, 0xbf4178ce, v53
	v_fmac_f32_e32 v61, 0x3f4178ce, v53
	v_add_f32_e32 v15, v60, v15
	v_mul_f32_e32 v60, 0xbe11bafb, v14
	v_add_f32_e32 v18, v61, v18
	v_mov_b32_e32 v61, v60
	v_fmac_f32_e32 v60, 0x3f7d64f0, v53
	v_fmac_f32_e32 v61, 0xbf7d64f0, v53
	v_add_f32_e32 v19, v60, v19
	v_mul_f32_e32 v60, 0x3f575c64, v14
	v_add_f32_e32 v24, v61, v24
	v_mov_b32_e32 v61, v60
	v_fmac_f32_e32 v60, 0xbf0a6770, v53
	v_add_f32_e32 v60, v60, v62
	v_mul_f32_e32 v62, 0xbf75a155, v14
	v_mul_f32_e32 v14, 0x3ed4b147, v14
	v_mov_b32_e32 v64, v14
	v_fmac_f32_e32 v14, 0x3f68dda4, v53
	v_add_f32_e32 v3, v14, v3
	v_add_f32_e32 v14, v36, v40
	v_sub_f32_e32 v34, v34, v38
	v_mul_f32_e32 v36, 0xbf75a155, v14
	v_mov_b32_e32 v38, v36
	v_fmac_f32_e32 v36, 0xbe903f40, v34
	v_fmac_f32_e32 v38, 0x3e903f40, v34
	v_add_f32_e32 v82, v36, v15
	v_mul_f32_e32 v15, 0x3f575c64, v14
	v_add_f32_e32 v81, v38, v18
	v_mov_b32_e32 v18, v15
	v_fmac_f32_e32 v15, 0x3f0a6770, v34
	v_fmac_f32_e32 v18, 0xbf0a6770, v34
	v_add_f32_e32 v84, v15, v19
	v_mul_f32_e32 v15, 0xbf27a4f4, v14
	v_add_f32_e32 v67, v67, v72
	v_fmac_f32_e32 v61, 0x3f0a6770, v53
	v_add_f32_e32 v83, v18, v24
	v_mov_b32_e32 v18, v15
	v_fmac_f32_e32 v15, 0xbf4178ce, v34
	v_add_f32_e32 v61, v61, v67
	v_mov_b32_e32 v63, v62
	v_fmac_f32_e32 v62, 0xbe903f40, v53
	v_fmac_f32_e32 v18, 0x3f4178ce, v34
	v_add_f32_e32 v87, v15, v60
	v_mul_f32_e32 v15, 0x3ed4b147, v14
	v_add_f32_e32 v62, v62, v65
	v_add_f32_e32 v86, v18, v61
	v_mov_b32_e32 v18, v15
	v_fmac_f32_e32 v15, 0x3f68dda4, v34
	v_mul_f32_e32 v14, 0xbe11bafb, v14
	v_add_f32_e32 v102, v15, v62
	v_mov_b32_e32 v15, v14
	v_fmac_f32_e32 v14, 0xbf7d64f0, v34
	v_add_f32_e32 v104, v14, v3
	v_add_f32_e32 v3, v50, v37
	;; [unrolled: 1-line block ×12, first 2 shown]
	v_fmac_f32_e32 v64, 0xbf68dda4, v53
	v_add_f32_e32 v3, v3, v21
	v_add_f32_e32 v68, v68, v75
	v_fmac_f32_e32 v63, 0x3e903f40, v53
	v_add_f32_e32 v64, v64, v66
	v_fmac_f32_e32 v15, 0x3f7d64f0, v34
	v_add_f32_e32 v105, v3, v41
	v_add_f32_e32 v3, v37, v41
	v_add_f32_e32 v63, v63, v68
	v_fmac_f32_e32 v18, 0xbf68dda4, v34
	v_add_f32_e32 v103, v15, v64
	v_mul_f32_e32 v15, 0x3f575c64, v3
	v_mul_f32_e32 v19, 0x3ed4b147, v3
	;; [unrolled: 1-line block ×5, first 2 shown]
	v_add_f32_e32 v93, v18, v63
	v_sub_f32_e32 v14, v39, v35
	v_mov_b32_e32 v18, v15
	v_mov_b32_e32 v24, v19
	;; [unrolled: 1-line block ×5, first 2 shown]
	v_fmac_f32_e32 v18, 0x3f0a6770, v14
	v_fmac_f32_e32 v15, 0xbf0a6770, v14
	;; [unrolled: 1-line block ×10, first 2 shown]
	v_add_f32_e32 v14, v32, v21
	v_sub_f32_e32 v21, v31, v33
	v_mul_f32_e32 v31, 0x3ed4b147, v14
	v_add_f32_e32 v15, v50, v15
	v_mov_b32_e32 v32, v31
	v_fmac_f32_e32 v31, 0xbf68dda4, v21
	v_add_f32_e32 v18, v50, v18
	v_fmac_f32_e32 v32, 0x3f68dda4, v21
	v_add_f32_e32 v15, v31, v15
	v_mul_f32_e32 v31, 0xbf27a4f4, v14
	v_add_f32_e32 v19, v50, v19
	v_add_f32_e32 v18, v32, v18
	v_mov_b32_e32 v32, v31
	v_fmac_f32_e32 v31, 0xbf4178ce, v21
	v_add_f32_e32 v24, v50, v24
	v_fmac_f32_e32 v32, 0x3f4178ce, v21
	v_add_f32_e32 v19, v31, v19
	v_mul_f32_e32 v31, 0xbf75a155, v14
	v_add_f32_e32 v24, v32, v24
	v_mov_b32_e32 v32, v31
	v_add_f32_e32 v35, v50, v35
	v_fmac_f32_e32 v32, 0xbe903f40, v21
	v_mul_f32_e32 v33, 0xbe11bafb, v14
	v_mul_f32_e32 v14, 0x3f575c64, v14
	v_add_f32_e32 v34, v50, v34
	v_add_f32_e32 v3, v50, v3
	;; [unrolled: 1-line block ×3, first 2 shown]
	v_fmac_f32_e32 v31, 0x3e903f40, v21
	v_mov_b32_e32 v35, v14
	v_fmac_f32_e32 v14, 0x3f0a6770, v21
	v_add_f32_e32 v31, v31, v34
	v_mov_b32_e32 v34, v33
	v_add_f32_e32 v3, v14, v3
	v_add_f32_e32 v14, v30, v16
	v_fmac_f32_e32 v34, 0xbf7d64f0, v21
	v_fmac_f32_e32 v33, 0x3f7d64f0, v21
	;; [unrolled: 1-line block ×3, first 2 shown]
	v_sub_f32_e32 v16, v29, v28
	v_mul_f32_e32 v21, 0xbe11bafb, v14
	v_mov_b32_e32 v28, v21
	v_fmac_f32_e32 v21, 0xbf7d64f0, v16
	v_fmac_f32_e32 v28, 0x3f7d64f0, v16
	v_add_f32_e32 v15, v21, v15
	v_mul_f32_e32 v21, 0xbf75a155, v14
	v_add_f32_e32 v18, v28, v18
	v_mov_b32_e32 v28, v21
	v_fmac_f32_e32 v21, 0x3e903f40, v16
	v_fmac_f32_e32 v28, 0xbe903f40, v16
	v_add_f32_e32 v19, v21, v19
	v_mul_f32_e32 v21, 0x3ed4b147, v14
	v_add_f32_e32 v24, v28, v24
	v_mov_b32_e32 v28, v21
	v_fmac_f32_e32 v21, 0x3f68dda4, v16
	v_mul_f32_e32 v29, 0x3f575c64, v14
	v_mul_f32_e32 v14, 0xbf27a4f4, v14
	v_add_f32_e32 v21, v21, v31
	v_mov_b32_e32 v31, v14
	v_fmac_f32_e32 v14, 0xbf4178ce, v16
	v_mov_b32_e32 v30, v29
	v_add_f32_e32 v3, v14, v3
	v_add_f32_e32 v14, v25, v27
	v_fmac_f32_e32 v28, 0xbf68dda4, v16
	v_fmac_f32_e32 v30, 0x3f0a6770, v16
	;; [unrolled: 1-line block ×4, first 2 shown]
	v_sub_f32_e32 v16, v23, v26
	v_mul_f32_e32 v23, 0xbf27a4f4, v14
	v_mov_b32_e32 v25, v23
	v_fmac_f32_e32 v23, 0xbf4178ce, v16
	v_fmac_f32_e32 v25, 0x3f4178ce, v16
	v_add_f32_e32 v15, v23, v15
	v_mul_f32_e32 v23, 0xbe11bafb, v14
	v_add_f32_e32 v18, v25, v18
	v_mov_b32_e32 v25, v23
	v_fmac_f32_e32 v23, 0x3f7d64f0, v16
	v_fmac_f32_e32 v25, 0xbf7d64f0, v16
	v_add_f32_e32 v19, v23, v19
	v_mul_f32_e32 v23, 0x3f575c64, v14
	v_add_f32_e32 v24, v25, v24
	v_mov_b32_e32 v25, v23
	v_fmac_f32_e32 v23, 0xbf0a6770, v16
	v_add_f32_e32 v21, v23, v21
	v_mul_f32_e32 v23, 0xbf75a155, v14
	v_mul_f32_e32 v14, 0x3ed4b147, v14
	v_mov_b32_e32 v27, v14
	v_fmac_f32_e32 v14, 0x3f68dda4, v16
	v_mov_b32_e32 v26, v23
	v_add_f32_e32 v3, v14, v3
	v_add_f32_e32 v14, v17, v22
	v_fmac_f32_e32 v25, 0x3f0a6770, v16
	v_fmac_f32_e32 v26, 0x3e903f40, v16
	;; [unrolled: 1-line block ×4, first 2 shown]
	v_sub_f32_e32 v4, v4, v20
	v_mul_f32_e32 v16, 0xbf75a155, v14
	v_mov_b32_e32 v17, v16
	v_fmac_f32_e32 v16, 0xbe903f40, v4
	v_add_f32_e32 v107, v16, v15
	v_mul_f32_e32 v15, 0x3f575c64, v14
	v_mov_b32_e32 v16, v15
	v_fmac_f32_e32 v15, 0x3f0a6770, v4
	v_add_f32_e32 v36, v50, v36
	v_fmac_f32_e32 v16, 0xbf0a6770, v4
	v_add_f32_e32 v109, v15, v19
	v_mul_f32_e32 v15, 0xbf27a4f4, v14
	v_add_f32_e32 v33, v33, v36
	v_add_f32_e32 v28, v28, v32
	;; [unrolled: 1-line block ×3, first 2 shown]
	v_mov_b32_e32 v16, v15
	v_fmac_f32_e32 v15, 0xbf4178ce, v4
	v_add_f32_e32 v37, v50, v37
	v_add_f32_e32 v38, v50, v38
	;; [unrolled: 1-line block ×4, first 2 shown]
	v_fmac_f32_e32 v16, 0x3f4178ce, v4
	v_add_f32_e32 v111, v15, v21
	v_mul_f32_e32 v15, 0x3ed4b147, v14
	v_add_f32_e32 v34, v34, v37
	v_add_f32_e32 v35, v35, v38
	;; [unrolled: 1-line block ×4, first 2 shown]
	v_mov_b32_e32 v16, v15
	v_fmac_f32_e32 v15, 0x3f68dda4, v4
	v_mul_f32_e32 v14, 0xbe11bafb, v14
	v_add_f32_e32 v30, v30, v34
	v_add_f32_e32 v31, v31, v35
	;; [unrolled: 1-line block ×3, first 2 shown]
	v_mov_b32_e32 v15, v14
	v_add_f32_e32 v26, v26, v30
	v_add_f32_e32 v27, v27, v31
	v_fmac_f32_e32 v17, 0x3e903f40, v4
	v_fmac_f32_e32 v16, 0xbf68dda4, v4
	;; [unrolled: 1-line block ×4, first 2 shown]
	v_add_u32_e32 v53, 0x400, v119
	v_add_u32_e32 v62, 0xa00, v119
	;; [unrolled: 1-line block ×8, first 2 shown]
	v_add_f32_e32 v106, v17, v18
	v_add_f32_e32 v112, v16, v26
	;; [unrolled: 1-line block ×4, first 2 shown]
	s_waitcnt lgkmcnt(0)
	; wave barrier
	s_waitcnt lgkmcnt(0)
	ds_read_b32 v73, v119
	ds_read2_b32 v[40:41], v53 offset0:129 offset1:184
	ds_read2_b32 v[16:17], v62 offset0:75 offset1:130
	;; [unrolled: 1-line block ×8, first 2 shown]
	ds_read_b32 v78, v71
	ds_read_b32 v74, v69
	ds_read2_b32 v[28:29], v60 offset0:167 offset1:222
	ds_read2_b32 v[26:27], v61 offset0:169 offset1:224
	v_lshl_add_u32 v50, v115, 2, 0
	v_add_u32_e32 v67, 0x800, v119
	v_add_u32_e32 v68, 0x1400, v119
	;; [unrolled: 1-line block ×4, first 2 shown]
	v_lshl_add_u32 v72, v7, 2, 0
	ds_read_b32 v79, v70
	ds_read_b32 v77, v72
	ds_read2_b32 v[24:25], v67 offset0:93 offset1:148
	ds_read2_b32 v[22:23], v68 offset0:95 offset1:150
	;; [unrolled: 1-line block ×5, first 2 shown]
	s_waitcnt lgkmcnt(0)
	; wave barrier
	s_waitcnt lgkmcnt(0)
	ds_write2_b32 v80, v91, v89 offset1:7
	ds_write2_b32 v80, v92, v95 offset0:14 offset1:21
	ds_write2_b32 v80, v97, v99 offset0:28 offset1:35
	ds_write2_b32 v80, v100, v98 offset0:42 offset1:49
	ds_write2_b32 v80, v96, v94 offset0:56 offset1:63
	ds_write_b32 v80, v90 offset:280
	ds_write2_b32 v85, v101, v81 offset1:7
	ds_write2_b32 v85, v83, v86 offset0:14 offset1:21
	ds_write2_b32 v85, v93, v103 offset0:28 offset1:35
	ds_write2_b32 v85, v104, v102 offset0:42 offset1:49
	ds_write2_b32 v85, v87, v84 offset0:56 offset1:63
	ds_write_b32 v85, v82 offset:280
	;; [unrolled: 6-line block ×3, first 2 shown]
	s_and_saveexec_b64 s[6:7], s[0:1]
	s_cbranch_execz .LBB0_21
; %bb.20:
	v_add_f32_e32 v80, v0, v58
	v_add_f32_e32 v80, v80, v55
	v_add_f32_e32 v80, v80, v51
	v_add_f32_e32 v80, v80, v47
	v_add_f32_e32 v80, v80, v6
	v_add_f32_e32 v80, v80, v43
	v_add_f32_e32 v80, v80, v12
	v_add_f32_e32 v80, v80, v13
	v_add_f32_e32 v80, v80, v10
	v_add_f32_e32 v80, v80, v11
	v_add_f32_e32 v11, v58, v11
	v_mul_f32_e32 v58, 0x3f575c64, v11
	v_mul_f32_e32 v81, 0x3ed4b147, v11
	;; [unrolled: 1-line block ×5, first 2 shown]
	v_sub_f32_e32 v57, v57, v59
	v_mov_b32_e32 v59, v58
	v_mov_b32_e32 v82, v81
	;; [unrolled: 1-line block ×5, first 2 shown]
	v_fmac_f32_e32 v59, 0x3f0a6770, v57
	v_fmac_f32_e32 v58, 0xbf0a6770, v57
	;; [unrolled: 1-line block ×10, first 2 shown]
	v_add_f32_e32 v10, v55, v10
	v_add_f32_e32 v59, v0, v59
	;; [unrolled: 1-line block ×11, first 2 shown]
	v_sub_f32_e32 v11, v54, v56
	v_mul_f32_e32 v54, 0x3ed4b147, v10
	v_mov_b32_e32 v55, v54
	v_fmac_f32_e32 v54, 0xbf68dda4, v11
	v_mul_f32_e32 v56, 0xbf27a4f4, v10
	v_fmac_f32_e32 v55, 0x3f68dda4, v11
	v_add_f32_e32 v54, v54, v58
	v_mov_b32_e32 v57, v56
	v_fmac_f32_e32 v56, 0xbf4178ce, v11
	v_mul_f32_e32 v58, 0xbf75a155, v10
	v_add_f32_e32 v55, v55, v59
	v_add_f32_e32 v56, v56, v81
	v_mov_b32_e32 v59, v58
	v_fmac_f32_e32 v58, 0x3e903f40, v11
	v_mul_f32_e32 v81, 0xbe11bafb, v10
	v_mul_f32_e32 v10, 0x3f575c64, v10
	v_fmac_f32_e32 v57, 0x3f4178ce, v11
	v_add_f32_e32 v58, v58, v83
	v_mov_b32_e32 v83, v10
	v_fmac_f32_e32 v10, 0x3f0a6770, v11
	v_add_f32_e32 v57, v57, v82
	v_mov_b32_e32 v82, v81
	v_add_f32_e32 v0, v10, v0
	v_add_f32_e32 v10, v51, v13
	v_fmac_f32_e32 v59, 0xbe903f40, v11
	v_fmac_f32_e32 v82, 0xbf7d64f0, v11
	;; [unrolled: 1-line block ×4, first 2 shown]
	v_sub_f32_e32 v11, v49, v52
	v_mul_f32_e32 v13, 0xbe11bafb, v10
	v_mov_b32_e32 v49, v13
	v_fmac_f32_e32 v13, 0xbf7d64f0, v11
	v_mul_f32_e32 v51, 0xbf75a155, v10
	v_fmac_f32_e32 v49, 0x3f7d64f0, v11
	v_add_f32_e32 v13, v13, v54
	v_mov_b32_e32 v52, v51
	v_fmac_f32_e32 v51, 0x3e903f40, v11
	v_mul_f32_e32 v54, 0x3ed4b147, v10
	v_add_f32_e32 v49, v49, v55
	v_add_f32_e32 v51, v51, v56
	v_mov_b32_e32 v55, v54
	v_fmac_f32_e32 v54, 0x3f68dda4, v11
	v_mul_f32_e32 v56, 0x3f575c64, v10
	v_mul_f32_e32 v10, 0xbf27a4f4, v10
	v_fmac_f32_e32 v52, 0xbe903f40, v11
	v_add_f32_e32 v54, v54, v58
	v_mov_b32_e32 v58, v10
	v_fmac_f32_e32 v10, 0xbf4178ce, v11
	v_add_f32_e32 v52, v52, v57
	v_mov_b32_e32 v57, v56
	v_add_f32_e32 v0, v10, v0
	v_add_f32_e32 v10, v47, v12
	v_fmac_f32_e32 v55, 0xbf68dda4, v11
	v_fmac_f32_e32 v57, 0x3f0a6770, v11
	;; [unrolled: 1-line block ×4, first 2 shown]
	v_sub_f32_e32 v11, v45, v48
	v_mul_f32_e32 v12, 0xbf27a4f4, v10
	v_mov_b32_e32 v45, v12
	v_fmac_f32_e32 v12, 0xbf4178ce, v11
	v_add_f32_e32 v12, v12, v13
	v_mul_f32_e32 v13, 0xbe11bafb, v10
	v_fmac_f32_e32 v45, 0x3f4178ce, v11
	v_mov_b32_e32 v47, v13
	v_fmac_f32_e32 v13, 0x3f7d64f0, v11
	v_mul_f32_e32 v48, 0x3f575c64, v10
	v_add_f32_e32 v45, v45, v49
	v_add_f32_e32 v13, v13, v51
	v_mov_b32_e32 v49, v48
	v_fmac_f32_e32 v48, 0xbf0a6770, v11
	v_mul_f32_e32 v51, 0xbf75a155, v10
	v_mul_f32_e32 v10, 0x3ed4b147, v10
	v_fmac_f32_e32 v47, 0xbf7d64f0, v11
	v_add_f32_e32 v48, v48, v54
	v_mov_b32_e32 v54, v10
	v_fmac_f32_e32 v10, 0x3f68dda4, v11
	v_add_f32_e32 v6, v6, v43
	v_add_f32_e32 v47, v47, v52
	v_mov_b32_e32 v52, v51
	v_add_f32_e32 v0, v10, v0
	v_sub_f32_e32 v5, v5, v42
	v_mul_f32_e32 v10, 0xbf75a155, v6
	v_fmac_f32_e32 v49, 0x3f0a6770, v11
	v_fmac_f32_e32 v52, 0x3e903f40, v11
	;; [unrolled: 1-line block ×4, first 2 shown]
	v_mov_b32_e32 v11, v10
	v_fmac_f32_e32 v10, 0xbe903f40, v5
	v_add_f32_e32 v10, v10, v12
	v_mul_f32_e32 v12, 0x3f575c64, v6
	v_mov_b32_e32 v42, v12
	v_fmac_f32_e32 v12, 0x3f0a6770, v5
	v_fmac_f32_e32 v11, 0x3e903f40, v5
	v_add_f32_e32 v12, v12, v13
	v_mul_f32_e32 v13, 0xbf27a4f4, v6
	v_add_f32_e32 v11, v11, v45
	v_mov_b32_e32 v43, v13
	v_fmac_f32_e32 v13, 0xbf4178ce, v5
	v_mul_f32_e32 v45, 0x3ed4b147, v6
	v_mul_f32_e32 v6, 0xbe11bafb, v6
	v_fmac_f32_e32 v42, 0xbf0a6770, v5
	v_add_f32_e32 v13, v13, v48
	v_mov_b32_e32 v48, v6
	v_fmac_f32_e32 v6, 0xbf7d64f0, v5
	v_add_f32_e32 v59, v59, v84
	v_add_f32_e32 v82, v82, v86
	;; [unrolled: 1-line block ×5, first 2 shown]
	v_mov_b32_e32 v47, v45
	v_add_f32_e32 v0, v6, v0
	v_mov_b32_e32 v6, 2
	v_add_f32_e32 v55, v55, v59
	v_add_f32_e32 v57, v57, v82
	;; [unrolled: 1-line block ×4, first 2 shown]
	v_fmac_f32_e32 v43, 0x3f4178ce, v5
	v_fmac_f32_e32 v47, 0xbf68dda4, v5
	;; [unrolled: 1-line block ×4, first 2 shown]
	v_mul_u32_u24_e32 v5, 0x134, v44
	v_lshlrev_b32_sdwa v6, v6, v46 dst_sel:DWORD dst_unused:UNUSED_PAD src0_sel:DWORD src1_sel:BYTE_0
	v_add_f32_e32 v49, v49, v55
	v_add_f32_e32 v52, v52, v57
	;; [unrolled: 1-line block ×4, first 2 shown]
	v_add3_u32 v5, 0, v5, v6
	v_add_f32_e32 v43, v43, v49
	v_add_f32_e32 v47, v47, v52
	;; [unrolled: 1-line block ×4, first 2 shown]
	ds_write2_b32 v5, v80, v11 offset1:7
	ds_write2_b32 v5, v42, v43 offset0:14 offset1:21
	ds_write2_b32 v5, v47, v48 offset0:28 offset1:35
	ds_write2_b32 v5, v0, v45 offset0:42 offset1:49
	ds_write2_b32 v5, v13, v12 offset0:56 offset1:63
	ds_write_b32 v5, v10 offset:280
.LBB0_21:
	s_or_b64 exec, exec, s[6:7]
	v_lshlrev_b32_e32 v12, 2, v115
	v_mov_b32_e32 v13, 0
	v_lshlrev_b64 v[5:6], 3, v[12:13]
	v_mov_b32_e32 v0, s13
	v_add_co_u32_e64 v10, s[0:1], s12, v5
	v_addc_co_u32_e64 v11, s[0:1], v0, v6, s[0:1]
	v_subrev_u32_e32 v5, 22, v115
	v_cmp_gt_u32_e64 s[0:1], 22, v115
	v_cndmask_b32_e64 v5, v5, v116, s[0:1]
	v_lshlrev_b32_e32 v12, 2, v5
	v_lshlrev_b64 v[5:6], 3, v[12:13]
	s_waitcnt lgkmcnt(0)
	; wave barrier
	s_waitcnt lgkmcnt(0)
	global_load_dwordx4 v[54:57], v[10:11], off offset:560
	global_load_dwordx4 v[83:86], v[10:11], off offset:576
	v_add_co_u32_e64 v5, s[0:1], s12, v5
	v_addc_co_u32_e64 v6, s[0:1], v0, v6, s[0:1]
	global_load_dwordx4 v[87:90], v[5:6], off offset:560
	global_load_dwordx4 v[91:94], v[5:6], off offset:576
	s_movk_i32 s0, 0xd5
	v_mul_lo_u16_sdwa v6, v117, s0 dst_sel:DWORD dst_unused:UNUSED_PAD src0_sel:BYTE_0 src1_sel:DWORD
	v_lshrrev_b16_e32 v42, 14, v6
	v_mul_lo_u16_e32 v6, 0x4d, v42
	ds_read2_b32 v[46:47], v53 offset0:129 offset1:184
	ds_read2_b32 v[58:59], v62 offset0:75 offset1:130
	;; [unrolled: 1-line block ×5, first 2 shown]
	v_mov_b32_e32 v5, 5
	v_sub_u16_e32 v52, v117, v6
	v_lshlrev_b32_sdwa v5, v5, v52 dst_sel:DWORD dst_unused:UNUSED_PAD src0_sel:DWORD src1_sel:BYTE_0
	global_load_dwordx4 v[95:98], v5, s[12:13] offset:576
	global_load_dwordx4 v[99:102], v5, s[12:13] offset:560
	v_mul_lo_u16_sdwa v5, v118, s0 dst_sel:DWORD dst_unused:UNUSED_PAD src0_sel:BYTE_0 src1_sel:DWORD
	v_lshrrev_b16_e32 v5, 14, v5
	v_mul_lo_u16_e32 v5, 0x4d, v5
	s_movk_i32 s0, 0x1a99
	v_add_u32_e32 v0, 0x113, v115
	v_sub_u16_e32 v5, v118, v5
	v_mul_u32_u24_sdwa v44, v7, s0 dst_sel:DWORD dst_unused:UNUSED_PAD src0_sel:WORD_0 src1_sel:DWORD
	v_add_u32_e32 v48, 0x14a, v115
	v_and_b32_e32 v43, 0xff, v5
	v_mul_u32_u24_sdwa v111, v0, s0 dst_sel:DWORD dst_unused:UNUSED_PAD src0_sel:WORD_0 src1_sel:DWORD
	v_lshrrev_b32_e32 v45, 19, v44
	v_lshlrev_b32_e32 v5, 5, v43
	v_lshrrev_b32_e32 v44, 19, v111
	v_mul_lo_u16_e32 v111, 0x4d, v45
	ds_read2_b32 v[137:138], v61 offset0:59 offset1:114
	ds_read_b32 v80, v70
	ds_read_b32 v49, v71
	ds_read2_b32 v[139:140], v65 offset0:111 offset1:166
	ds_read2_b32 v[141:142], v66 offset0:113 offset1:168
	ds_read_b32 v51, v69
	ds_read2_b32 v[143:144], v60 offset0:167 offset1:222
	ds_read2_b32 v[145:146], v61 offset0:169 offset1:224
	global_load_dwordx4 v[103:106], v5, s[12:13] offset:576
	global_load_dwordx4 v[107:110], v5, s[12:13] offset:560
	v_sub_u16_e32 v155, v7, v111
	v_mul_lo_u16_e32 v124, 0x4d, v44
	v_lshlrev_b32_e32 v120, 5, v155
	v_sub_u16_e32 v156, v0, v124
	ds_read_b32 v82, v119
	ds_read_b32 v81, v72
	ds_read2_b32 v[147:148], v67 offset0:93 offset1:148
	ds_read2_b32 v[149:150], v68 offset0:95 offset1:150
	;; [unrolled: 1-line block ×5, first 2 shown]
	global_load_dwordx4 v[111:114], v120, s[12:13] offset:576
	s_nop 0
	global_load_dwordx4 v[120:123], v120, s[12:13] offset:560
	s_waitcnt vmcnt(9) lgkmcnt(14)
	v_mul_f32_e32 v157, v46, v55
	v_mul_f32_e32 v55, v40, v55
	;; [unrolled: 1-line block ×4, first 2 shown]
	v_fmac_f32_e32 v157, v40, v54
	v_fma_f32 v40, v46, v54, -v55
	v_fma_f32 v46, v59, v56, -v57
	s_waitcnt vmcnt(8)
	v_mul_f32_e32 v59, v134, v86
	v_fmac_f32_e32 v59, v15, v85
	v_mul_f32_e32 v15, v15, v86
	v_fma_f32 v134, v134, v85, -v15
	s_waitcnt vmcnt(7)
	v_mul_f32_e32 v160, v47, v88
	v_mul_f32_e32 v15, v41, v88
	v_fmac_f32_e32 v160, v41, v87
	v_fma_f32 v41, v47, v87, -v15
	v_mul_u32_u24_sdwa v15, v48, s0 dst_sel:DWORD dst_unused:UNUSED_PAD src0_sel:WORD_0 src1_sel:DWORD
	v_lshrrev_b32_e32 v15, 19, v15
	v_mul_lo_u16_e32 v15, 0x4d, v15
	v_fmac_f32_e32 v158, v17, v56
	v_lshlrev_b32_e32 v17, 5, v156
	v_sub_u16_e32 v15, v48, v15
	v_mul_f32_e32 v159, v131, v84
	v_mul_f32_e32 v84, v38, v84
	global_load_dwordx4 v[54:57], v17, s[12:13] offset:576
	global_load_dwordx4 v[124:127], v17, s[12:13] offset:560
	v_lshlrev_b32_e32 v17, 5, v15
	v_fmac_f32_e32 v159, v38, v83
	v_fma_f32 v38, v131, v83, -v84
	global_load_dwordx4 v[83:86], v17, s[12:13] offset:576
	global_load_dwordx4 v[128:131], v17, s[12:13] offset:560
	v_mul_f32_e32 v47, v135, v90
	v_mul_f32_e32 v17, v36, v90
	v_fmac_f32_e32 v47, v36, v89
	v_fma_f32 v36, v135, v89, -v17
	s_waitcnt vmcnt(10)
	v_mul_f32_e32 v87, v132, v92
	v_mul_f32_e32 v17, v39, v92
	v_fmac_f32_e32 v87, v39, v91
	v_fma_f32 v39, v132, v91, -v17
	v_mul_f32_e32 v17, v34, v94
	s_waitcnt vmcnt(9) lgkmcnt(10)
	v_mul_f32_e32 v92, v141, v96
	v_mul_f32_e32 v88, v137, v94
	v_fma_f32 v89, v137, v93, -v17
	v_mov_b32_e32 v17, 2
	v_fmac_f32_e32 v92, v30, v95
	v_mul_f32_e32 v30, v30, v96
	v_fmac_f32_e32 v88, v34, v93
	v_lshlrev_b32_sdwa v17, v17, v52 dst_sel:DWORD dst_unused:UNUSED_PAD src0_sel:DWORD src1_sel:BYTE_0
	s_waitcnt vmcnt(8)
	v_mul_f32_e32 v52, v139, v100
	v_fma_f32 v93, v141, v95, -v30
	v_mul_f32_e32 v94, v138, v98
	v_mul_f32_e32 v30, v35, v98
	s_waitcnt vmcnt(6) lgkmcnt(8)
	v_mul_f32_e32 v98, v143, v110
	v_fmac_f32_e32 v52, v32, v99
	v_mul_f32_e32 v32, v32, v100
	v_fmac_f32_e32 v98, v28, v109
	v_mul_f32_e32 v28, v28, v110
	v_fma_f32 v90, v139, v99, -v32
	v_mul_f32_e32 v91, v136, v102
	v_mul_f32_e32 v32, v37, v102
	v_fma_f32 v99, v143, v109, -v28
	v_mul_f32_e32 v100, v142, v104
	v_mul_f32_e32 v28, v31, v104
	s_waitcnt lgkmcnt(7)
	v_mul_f32_e32 v102, v145, v106
	s_waitcnt vmcnt(4) lgkmcnt(4)
	v_mul_f32_e32 v104, v147, v121
	v_fma_f32 v95, v138, v97, -v30
	v_mul_f32_e32 v96, v140, v108
	v_mul_f32_e32 v30, v33, v108
	v_fmac_f32_e32 v100, v31, v103
	v_fmac_f32_e32 v102, v26, v105
	v_mul_f32_e32 v26, v26, v106
	v_fmac_f32_e32 v104, v24, v120
	v_mul_f32_e32 v24, v24, v121
	s_waitcnt lgkmcnt(3)
	v_mul_f32_e32 v108, v149, v112
	v_fmac_f32_e32 v91, v37, v101
	v_fma_f32 v37, v136, v101, -v32
	v_fma_f32 v101, v142, v103, -v28
	;; [unrolled: 1-line block ×4, first 2 shown]
	v_mul_f32_e32 v24, v29, v123
	v_fmac_f32_e32 v108, v22, v111
	v_mul_f32_e32 v22, v22, v112
	v_fmac_f32_e32 v94, v35, v97
	v_fmac_f32_e32 v96, v33, v107
	v_fma_f32 v97, v140, v107, -v30
	v_fma_f32 v107, v144, v122, -v24
	;; [unrolled: 1-line block ×3, first 2 shown]
	v_mul_f32_e32 v110, v146, v114
	v_mul_f32_e32 v22, v27, v114
	;; [unrolled: 1-line block ×3, first 2 shown]
	v_fmac_f32_e32 v106, v29, v122
	v_fmac_f32_e32 v110, v27, v113
	v_fma_f32 v111, v146, v113, -v22
	v_sub_f32_e32 v34, v157, v59
	v_sub_f32_e32 v35, v158, v159
	v_cmp_lt_u32_e64 s[0:1], 21, v115
	v_lshlrev_b32_e32 v26, 2, v155
	v_lshlrev_b32_e32 v22, 2, v156
	s_waitcnt lgkmcnt(0)
	; wave barrier
	s_waitcnt vmcnt(3) lgkmcnt(0)
	v_mul_f32_e32 v121, v150, v55
	s_waitcnt vmcnt(2)
	v_mul_f32_e32 v112, v148, v125
	v_fmac_f32_e32 v112, v25, v124
	v_mul_f32_e32 v24, v25, v125
	s_waitcnt vmcnt(1)
	v_mul_f32_e32 v31, v133, v84
	v_fmac_f32_e32 v31, v14, v83
	v_mul_f32_e32 v14, v14, v84
	v_fma_f32 v25, v133, v83, -v14
	v_mul_f32_e32 v14, v19, v86
	v_fma_f32 v28, v154, v85, -v14
	v_add_f32_e32 v14, v73, v157
	v_mul_f32_e32 v114, v151, v127
	v_add_f32_e32 v14, v14, v158
	v_fmac_f32_e32 v114, v20, v126
	v_mul_f32_e32 v20, v20, v127
	v_add_f32_e32 v14, v14, v159
	v_fma_f32 v120, v151, v126, -v20
	v_fmac_f32_e32 v121, v23, v54
	v_mul_f32_e32 v20, v23, v55
	s_waitcnt vmcnt(0)
	v_mul_f32_e32 v29, v58, v129
	v_add_f32_e32 v23, v14, v59
	v_add_f32_e32 v14, v158, v159
	v_fma_f32 v113, v148, v124, -v24
	v_mul_f32_e32 v55, v153, v57
	v_fmac_f32_e32 v29, v16, v128
	v_mul_f32_e32 v16, v16, v129
	v_fma_f32 v24, -0.5, v14, v73
	v_fma_f32 v54, v150, v54, -v20
	v_fmac_f32_e32 v55, v18, v56
	v_mul_f32_e32 v18, v18, v57
	v_fma_f32 v20, v58, v128, -v16
	v_mul_f32_e32 v30, v152, v131
	v_mul_f32_e32 v16, v21, v131
	;; [unrolled: 1-line block ×3, first 2 shown]
	v_sub_f32_e32 v14, v40, v134
	v_mov_b32_e32 v27, v24
	v_fma_f32 v56, v153, v56, -v18
	v_fmac_f32_e32 v30, v21, v130
	v_fma_f32 v21, v152, v130, -v16
	v_fmac_f32_e32 v33, v19, v85
	v_fmac_f32_e32 v27, 0xbf737871, v14
	v_sub_f32_e32 v16, v46, v38
	v_sub_f32_e32 v18, v157, v158
	;; [unrolled: 1-line block ×3, first 2 shown]
	v_fmac_f32_e32 v24, 0x3f737871, v14
	v_fmac_f32_e32 v27, 0xbf167918, v16
	v_add_f32_e32 v18, v18, v19
	v_fmac_f32_e32 v24, 0x3f167918, v16
	v_fmac_f32_e32 v27, 0x3e9e377a, v18
	;; [unrolled: 1-line block ×3, first 2 shown]
	v_add_f32_e32 v18, v157, v59
	v_fmac_f32_e32 v73, -0.5, v18
	v_mov_b32_e32 v32, v73
	v_fmac_f32_e32 v32, 0x3f737871, v16
	v_sub_f32_e32 v18, v158, v157
	v_sub_f32_e32 v19, v159, v59
	v_fmac_f32_e32 v73, 0xbf737871, v16
	v_add_f32_e32 v16, v46, v38
	v_fmac_f32_e32 v32, 0xbf167918, v14
	v_add_f32_e32 v18, v18, v19
	v_fmac_f32_e32 v73, 0x3f167918, v14
	v_fma_f32 v16, -0.5, v16, v82
	v_fmac_f32_e32 v32, 0x3e9e377a, v18
	v_fmac_f32_e32 v73, 0x3e9e377a, v18
	v_mov_b32_e32 v18, v16
	v_fmac_f32_e32 v18, 0x3f737871, v34
	v_sub_f32_e32 v19, v40, v46
	v_sub_f32_e32 v57, v134, v38
	v_fmac_f32_e32 v16, 0xbf737871, v34
	v_fmac_f32_e32 v18, 0x3f167918, v35
	v_add_f32_e32 v19, v19, v57
	v_fmac_f32_e32 v16, 0xbf167918, v35
	v_fmac_f32_e32 v18, 0x3e9e377a, v19
	;; [unrolled: 1-line block ×3, first 2 shown]
	v_add_f32_e32 v19, v40, v134
	v_add_f32_e32 v14, v82, v40
	v_fmac_f32_e32 v82, -0.5, v19
	v_mov_b32_e32 v19, v82
	v_fmac_f32_e32 v19, 0xbf737871, v35
	v_fmac_f32_e32 v82, 0x3f737871, v35
	v_add_f32_e32 v14, v14, v46
	v_fmac_f32_e32 v19, 0x3f167918, v34
	v_fmac_f32_e32 v82, 0xbf167918, v34
	v_add_f32_e32 v34, v79, v160
	v_add_f32_e32 v14, v14, v38
	v_sub_f32_e32 v40, v46, v40
	v_sub_f32_e32 v38, v38, v134
	v_add_f32_e32 v34, v34, v47
	v_add_f32_e32 v38, v40, v38
	;; [unrolled: 1-line block ×3, first 2 shown]
	v_fmac_f32_e32 v19, 0x3e9e377a, v38
	v_fmac_f32_e32 v82, 0x3e9e377a, v38
	v_add_f32_e32 v38, v34, v88
	v_add_f32_e32 v34, v47, v87
	v_fma_f32 v40, -0.5, v34, v79
	v_sub_f32_e32 v34, v41, v89
	v_mov_b32_e32 v46, v40
	v_fmac_f32_e32 v46, 0xbf737871, v34
	v_sub_f32_e32 v35, v36, v39
	v_sub_f32_e32 v57, v160, v47
	;; [unrolled: 1-line block ×3, first 2 shown]
	v_fmac_f32_e32 v40, 0x3f737871, v34
	v_fmac_f32_e32 v46, 0xbf167918, v35
	v_add_f32_e32 v57, v57, v58
	v_fmac_f32_e32 v40, 0x3f167918, v35
	v_fmac_f32_e32 v46, 0x3e9e377a, v57
	;; [unrolled: 1-line block ×3, first 2 shown]
	v_add_f32_e32 v57, v160, v88
	v_fmac_f32_e32 v79, -0.5, v57
	v_mov_b32_e32 v57, v79
	v_fmac_f32_e32 v57, 0x3f737871, v35
	v_sub_f32_e32 v58, v47, v160
	v_sub_f32_e32 v59, v87, v88
	v_fmac_f32_e32 v79, 0xbf737871, v35
	v_add_f32_e32 v35, v36, v39
	v_fmac_f32_e32 v57, 0xbf167918, v34
	v_add_f32_e32 v58, v58, v59
	v_fmac_f32_e32 v79, 0x3f167918, v34
	v_fma_f32 v35, -0.5, v35, v80
	v_fmac_f32_e32 v57, 0x3e9e377a, v58
	v_fmac_f32_e32 v79, 0x3e9e377a, v58
	v_sub_f32_e32 v58, v160, v88
	v_mov_b32_e32 v83, v35
	v_add_f32_e32 v34, v80, v41
	v_fmac_f32_e32 v83, 0x3f737871, v58
	v_sub_f32_e32 v47, v47, v87
	v_sub_f32_e32 v59, v41, v36
	;; [unrolled: 1-line block ×3, first 2 shown]
	v_fmac_f32_e32 v35, 0xbf737871, v58
	v_add_f32_e32 v34, v34, v36
	v_fmac_f32_e32 v83, 0x3f167918, v47
	v_add_f32_e32 v59, v59, v84
	v_fmac_f32_e32 v35, 0xbf167918, v47
	v_add_f32_e32 v34, v34, v39
	v_fmac_f32_e32 v83, 0x3e9e377a, v59
	v_fmac_f32_e32 v35, 0x3e9e377a, v59
	v_add_f32_e32 v59, v41, v89
	v_sub_f32_e32 v36, v36, v41
	v_sub_f32_e32 v39, v39, v89
	v_fmac_f32_e32 v80, -0.5, v59
	v_add_f32_e32 v36, v36, v39
	v_add_f32_e32 v39, v91, v92
	v_mov_b32_e32 v84, v80
	v_fma_f32 v39, -0.5, v39, v78
	v_fmac_f32_e32 v84, 0xbf737871, v47
	v_fmac_f32_e32 v80, 0x3f737871, v47
	v_sub_f32_e32 v41, v90, v95
	v_mov_b32_e32 v47, v39
	v_fmac_f32_e32 v84, 0x3f167918, v58
	v_fmac_f32_e32 v80, 0xbf167918, v58
	;; [unrolled: 1-line block ×3, first 2 shown]
	v_sub_f32_e32 v58, v37, v93
	v_sub_f32_e32 v59, v52, v91
	;; [unrolled: 1-line block ×3, first 2 shown]
	v_fmac_f32_e32 v39, 0x3f737871, v41
	v_fmac_f32_e32 v47, 0xbf167918, v58
	v_add_f32_e32 v59, v59, v85
	v_fmac_f32_e32 v39, 0x3f167918, v58
	v_fmac_f32_e32 v47, 0x3e9e377a, v59
	;; [unrolled: 1-line block ×3, first 2 shown]
	v_add_f32_e32 v59, v52, v94
	v_fmac_f32_e32 v84, 0x3e9e377a, v36
	v_fmac_f32_e32 v80, 0x3e9e377a, v36
	v_add_f32_e32 v36, v78, v52
	v_fmac_f32_e32 v78, -0.5, v59
	v_mov_b32_e32 v59, v78
	v_fmac_f32_e32 v59, 0x3f737871, v58
	v_fmac_f32_e32 v78, 0xbf737871, v58
	;; [unrolled: 1-line block ×4, first 2 shown]
	v_add_f32_e32 v41, v49, v90
	v_sub_f32_e32 v85, v91, v52
	v_sub_f32_e32 v86, v92, v94
	v_add_f32_e32 v41, v41, v37
	v_add_f32_e32 v85, v85, v86
	;; [unrolled: 1-line block ×3, first 2 shown]
	v_fmac_f32_e32 v59, 0x3e9e377a, v85
	v_fmac_f32_e32 v78, 0x3e9e377a, v85
	v_add_f32_e32 v85, v41, v95
	v_add_f32_e32 v41, v37, v93
	v_fma_f32 v86, -0.5, v41, v49
	v_sub_f32_e32 v41, v52, v94
	v_mov_b32_e32 v87, v86
	v_fmac_f32_e32 v87, 0x3f737871, v41
	v_sub_f32_e32 v52, v91, v92
	v_sub_f32_e32 v58, v90, v37
	v_sub_f32_e32 v88, v95, v93
	v_fmac_f32_e32 v86, 0xbf737871, v41
	v_fmac_f32_e32 v87, 0x3f167918, v52
	v_add_f32_e32 v58, v58, v88
	v_fmac_f32_e32 v86, 0xbf167918, v52
	v_fmac_f32_e32 v87, 0x3e9e377a, v58
	;; [unrolled: 1-line block ×3, first 2 shown]
	v_add_f32_e32 v58, v90, v95
	v_fmac_f32_e32 v49, -0.5, v58
	v_mov_b32_e32 v88, v49
	v_fmac_f32_e32 v88, 0xbf737871, v52
	v_fmac_f32_e32 v49, 0x3f737871, v52
	v_fmac_f32_e32 v88, 0x3f167918, v41
	v_fmac_f32_e32 v49, 0xbf167918, v41
	v_add_f32_e32 v41, v98, v100
	v_sub_f32_e32 v37, v37, v90
	v_sub_f32_e32 v58, v93, v95
	v_fma_f32 v41, -0.5, v41, v74
	v_add_f32_e32 v37, v37, v58
	v_sub_f32_e32 v52, v97, v103
	v_mov_b32_e32 v58, v41
	v_add_f32_e32 v34, v34, v89
	v_add_f32_e32 v36, v36, v91
	v_fmac_f32_e32 v58, 0xbf737871, v52
	v_sub_f32_e32 v89, v99, v101
	v_sub_f32_e32 v90, v96, v98
	;; [unrolled: 1-line block ×3, first 2 shown]
	v_fmac_f32_e32 v41, 0x3f737871, v52
	v_fmac_f32_e32 v58, 0xbf167918, v89
	v_add_f32_e32 v90, v90, v91
	v_fmac_f32_e32 v41, 0x3f167918, v89
	v_fmac_f32_e32 v58, 0x3e9e377a, v90
	;; [unrolled: 1-line block ×3, first 2 shown]
	v_add_f32_e32 v90, v96, v102
	v_fmac_f32_e32 v88, 0x3e9e377a, v37
	v_fmac_f32_e32 v49, 0x3e9e377a, v37
	v_add_f32_e32 v37, v74, v96
	v_fmac_f32_e32 v74, -0.5, v90
	v_mov_b32_e32 v90, v74
	v_fmac_f32_e32 v90, 0x3f737871, v89
	v_fmac_f32_e32 v74, 0xbf737871, v89
	;; [unrolled: 1-line block ×4, first 2 shown]
	v_add_f32_e32 v52, v51, v97
	v_add_f32_e32 v52, v52, v99
	v_add_f32_e32 v36, v36, v92
	v_sub_f32_e32 v91, v98, v96
	v_sub_f32_e32 v92, v100, v102
	v_add_f32_e32 v52, v52, v101
	v_add_f32_e32 v91, v91, v92
	v_add_f32_e32 v89, v52, v103
	v_add_f32_e32 v52, v99, v101
	v_fmac_f32_e32 v90, 0x3e9e377a, v91
	v_fmac_f32_e32 v74, 0x3e9e377a, v91
	v_fma_f32 v91, -0.5, v52, v51
	v_sub_f32_e32 v52, v96, v102
	v_mov_b32_e32 v92, v91
	v_add_f32_e32 v36, v36, v94
	v_fmac_f32_e32 v92, 0x3f737871, v52
	v_sub_f32_e32 v93, v98, v100
	v_sub_f32_e32 v94, v97, v99
	;; [unrolled: 1-line block ×3, first 2 shown]
	v_fmac_f32_e32 v91, 0xbf737871, v52
	v_fmac_f32_e32 v92, 0x3f167918, v93
	v_add_f32_e32 v94, v94, v95
	v_fmac_f32_e32 v91, 0xbf167918, v93
	v_fmac_f32_e32 v92, 0x3e9e377a, v94
	v_fmac_f32_e32 v91, 0x3e9e377a, v94
	v_add_f32_e32 v94, v97, v103
	v_fmac_f32_e32 v51, -0.5, v94
	v_mov_b32_e32 v94, v51
	v_fmac_f32_e32 v94, 0xbf737871, v93
	v_sub_f32_e32 v95, v99, v97
	v_sub_f32_e32 v96, v101, v103
	v_fmac_f32_e32 v51, 0x3f737871, v93
	v_add_f32_e32 v93, v106, v108
	v_fmac_f32_e32 v94, 0x3f167918, v52
	v_add_f32_e32 v95, v95, v96
	v_fmac_f32_e32 v51, 0xbf167918, v52
	v_fma_f32 v93, -0.5, v93, v77
	v_fmac_f32_e32 v94, 0x3e9e377a, v95
	v_fmac_f32_e32 v51, 0x3e9e377a, v95
	v_sub_f32_e32 v95, v105, v111
	v_mov_b32_e32 v96, v93
	v_add_f32_e32 v37, v37, v98
	v_fmac_f32_e32 v96, 0xbf737871, v95
	v_sub_f32_e32 v97, v107, v109
	v_sub_f32_e32 v98, v104, v106
	;; [unrolled: 1-line block ×3, first 2 shown]
	v_fmac_f32_e32 v93, 0x3f737871, v95
	v_fmac_f32_e32 v96, 0xbf167918, v97
	v_add_f32_e32 v98, v98, v99
	v_fmac_f32_e32 v93, 0x3f167918, v97
	v_fmac_f32_e32 v96, 0x3e9e377a, v98
	;; [unrolled: 1-line block ×3, first 2 shown]
	v_add_f32_e32 v98, v104, v110
	v_add_f32_e32 v52, v77, v104
	v_fmac_f32_e32 v77, -0.5, v98
	v_mov_b32_e32 v98, v77
	v_add_f32_e32 v37, v37, v100
	v_fmac_f32_e32 v98, 0x3f737871, v97
	v_sub_f32_e32 v99, v106, v104
	v_sub_f32_e32 v100, v108, v110
	v_fmac_f32_e32 v77, 0xbf737871, v97
	v_add_f32_e32 v97, v107, v109
	v_fmac_f32_e32 v98, 0xbf167918, v95
	v_add_f32_e32 v99, v99, v100
	v_fmac_f32_e32 v77, 0x3f167918, v95
	v_fma_f32 v97, -0.5, v97, v81
	v_fmac_f32_e32 v98, 0x3e9e377a, v99
	v_fmac_f32_e32 v77, 0x3e9e377a, v99
	v_sub_f32_e32 v99, v104, v110
	v_mov_b32_e32 v100, v97
	v_add_f32_e32 v37, v37, v102
	v_fmac_f32_e32 v100, 0x3f737871, v99
	v_sub_f32_e32 v101, v106, v108
	v_sub_f32_e32 v102, v105, v107
	;; [unrolled: 1-line block ×3, first 2 shown]
	v_fmac_f32_e32 v97, 0xbf737871, v99
	v_fmac_f32_e32 v100, 0x3f167918, v101
	v_add_f32_e32 v102, v102, v103
	v_fmac_f32_e32 v97, 0xbf167918, v101
	v_fmac_f32_e32 v100, 0x3e9e377a, v102
	;; [unrolled: 1-line block ×3, first 2 shown]
	v_add_f32_e32 v102, v105, v111
	v_add_f32_e32 v95, v81, v105
	v_fmac_f32_e32 v81, -0.5, v102
	v_mov_b32_e32 v102, v81
	v_fmac_f32_e32 v102, 0xbf737871, v101
	v_sub_f32_e32 v103, v107, v105
	v_sub_f32_e32 v104, v109, v111
	v_fmac_f32_e32 v81, 0x3f737871, v101
	v_add_f32_e32 v101, v114, v121
	v_fmac_f32_e32 v102, 0x3f167918, v99
	v_add_f32_e32 v103, v103, v104
	v_fmac_f32_e32 v81, 0xbf167918, v99
	v_fma_f32 v101, -0.5, v101, v3
	v_fmac_f32_e32 v102, 0x3e9e377a, v103
	v_fmac_f32_e32 v81, 0x3e9e377a, v103
	v_sub_f32_e32 v103, v113, v56
	v_mov_b32_e32 v104, v101
	v_add_f32_e32 v52, v52, v106
	v_add_f32_e32 v95, v95, v107
	v_fmac_f32_e32 v104, 0xbf737871, v103
	v_sub_f32_e32 v105, v120, v54
	v_sub_f32_e32 v106, v112, v114
	;; [unrolled: 1-line block ×3, first 2 shown]
	v_fmac_f32_e32 v101, 0x3f737871, v103
	v_fmac_f32_e32 v104, 0xbf167918, v105
	v_add_f32_e32 v106, v106, v107
	v_fmac_f32_e32 v101, 0x3f167918, v105
	v_fmac_f32_e32 v104, 0x3e9e377a, v106
	;; [unrolled: 1-line block ×3, first 2 shown]
	v_add_f32_e32 v106, v112, v55
	v_add_f32_e32 v99, v3, v112
	v_fma_f32 v3, -0.5, v106, v3
	v_mov_b32_e32 v106, v3
	v_add_f32_e32 v52, v52, v108
	v_add_f32_e32 v99, v99, v114
	v_fmac_f32_e32 v106, 0x3f737871, v105
	v_sub_f32_e32 v107, v114, v112
	v_sub_f32_e32 v108, v121, v55
	v_fmac_f32_e32 v3, 0xbf737871, v105
	v_add_f32_e32 v105, v120, v54
	v_add_f32_e32 v99, v99, v121
	v_fmac_f32_e32 v106, 0xbf167918, v103
	v_add_f32_e32 v107, v107, v108
	v_fmac_f32_e32 v3, 0x3f167918, v103
	v_fma_f32 v105, -0.5, v105, v5
	v_add_f32_e32 v99, v99, v55
	v_fmac_f32_e32 v106, 0x3e9e377a, v107
	v_fmac_f32_e32 v3, 0x3e9e377a, v107
	v_sub_f32_e32 v55, v112, v55
	v_mov_b32_e32 v107, v105
	v_add_f32_e32 v52, v52, v110
	v_add_f32_e32 v95, v95, v109
	v_fmac_f32_e32 v107, 0x3f737871, v55
	v_sub_f32_e32 v108, v114, v121
	v_sub_f32_e32 v109, v113, v120
	;; [unrolled: 1-line block ×3, first 2 shown]
	v_fmac_f32_e32 v105, 0xbf737871, v55
	v_fmac_f32_e32 v107, 0x3f167918, v108
	v_add_f32_e32 v109, v109, v110
	v_fmac_f32_e32 v105, 0xbf167918, v108
	v_fmac_f32_e32 v107, 0x3e9e377a, v109
	;; [unrolled: 1-line block ×3, first 2 shown]
	v_add_f32_e32 v109, v113, v56
	v_add_f32_e32 v103, v5, v113
	v_fma_f32 v5, -0.5, v109, v5
	v_mov_b32_e32 v109, v5
	v_fmac_f32_e32 v109, 0xbf737871, v108
	v_fmac_f32_e32 v5, 0x3f737871, v108
	v_add_f32_e32 v103, v103, v120
	v_fmac_f32_e32 v109, 0x3f167918, v55
	v_fmac_f32_e32 v5, 0xbf167918, v55
	v_add_f32_e32 v55, v30, v31
	v_add_f32_e32 v103, v103, v54
	v_fma_f32 v55, -0.5, v55, v4
	v_add_f32_e32 v103, v103, v56
	v_sub_f32_e32 v110, v120, v113
	v_sub_f32_e32 v54, v54, v56
	;; [unrolled: 1-line block ×3, first 2 shown]
	v_mov_b32_e32 v108, v55
	v_add_f32_e32 v95, v95, v111
	v_add_f32_e32 v54, v110, v54
	v_fmac_f32_e32 v108, 0xbf737871, v56
	v_sub_f32_e32 v110, v21, v25
	v_sub_f32_e32 v111, v29, v30
	v_sub_f32_e32 v112, v33, v31
	v_fmac_f32_e32 v55, 0x3f737871, v56
	v_fmac_f32_e32 v108, 0xbf167918, v110
	v_add_f32_e32 v111, v111, v112
	v_fmac_f32_e32 v55, 0x3f167918, v110
	v_fmac_f32_e32 v108, 0x3e9e377a, v111
	;; [unrolled: 1-line block ×3, first 2 shown]
	v_add_f32_e32 v111, v29, v33
	v_fmac_f32_e32 v109, 0x3e9e377a, v54
	v_fmac_f32_e32 v5, 0x3e9e377a, v54
	v_add_f32_e32 v54, v4, v29
	v_fmac_f32_e32 v4, -0.5, v111
	v_mov_b32_e32 v111, v4
	v_fmac_f32_e32 v111, 0x3f737871, v110
	v_fmac_f32_e32 v4, 0xbf737871, v110
	;; [unrolled: 1-line block ×4, first 2 shown]
	v_add_f32_e32 v56, v6, v20
	v_add_f32_e32 v56, v56, v21
	v_sub_f32_e32 v112, v30, v29
	v_sub_f32_e32 v113, v31, v33
	v_add_f32_e32 v56, v56, v25
	v_add_f32_e32 v112, v112, v113
	;; [unrolled: 1-line block ×5, first 2 shown]
	v_fmac_f32_e32 v111, 0x3e9e377a, v112
	v_fmac_f32_e32 v4, 0x3e9e377a, v112
	v_fma_f32 v112, -0.5, v56, v6
	v_add_f32_e32 v54, v54, v31
	v_sub_f32_e32 v29, v29, v33
	v_mov_b32_e32 v113, v112
	v_add_f32_e32 v54, v54, v33
	v_fmac_f32_e32 v113, 0x3f737871, v29
	v_sub_f32_e32 v30, v30, v31
	v_sub_f32_e32 v31, v20, v21
	;; [unrolled: 1-line block ×3, first 2 shown]
	v_fmac_f32_e32 v112, 0xbf737871, v29
	v_fmac_f32_e32 v113, 0x3f167918, v30
	v_add_f32_e32 v31, v31, v33
	v_fmac_f32_e32 v112, 0xbf167918, v30
	v_fmac_f32_e32 v113, 0x3e9e377a, v31
	;; [unrolled: 1-line block ×3, first 2 shown]
	v_add_f32_e32 v31, v20, v28
	v_fmac_f32_e32 v6, -0.5, v31
	v_mov_b32_e32 v31, v6
	v_fmac_f32_e32 v31, 0xbf737871, v30
	v_sub_f32_e32 v20, v21, v20
	v_sub_f32_e32 v21, v25, v28
	v_fmac_f32_e32 v6, 0x3f737871, v30
	v_fmac_f32_e32 v31, 0x3f167918, v29
	v_add_f32_e32 v20, v20, v21
	v_fmac_f32_e32 v6, 0xbf167918, v29
	v_fmac_f32_e32 v31, 0x3e9e377a, v20
	;; [unrolled: 1-line block ×3, first 2 shown]
	v_mov_b32_e32 v20, 0x604
	v_cndmask_b32_e64 v20, 0, v20, s[0:1]
	v_add3_u32 v12, 0, v20, v12
	v_mul_u32_u24_e32 v20, 0x604, v42
	ds_write2_b32 v119, v23, v27 offset1:77
	ds_write2_b32 v119, v32, v73 offset0:154 offset1:231
	ds_write_b32 v119, v24 offset:1232
	v_add3_u32 v17, 0, v20, v17
	v_lshl_add_u32 v20, v43, 2, 0
	v_mul_u32_u24_e32 v23, 0x604, v45
	v_mul_u32_u24_e32 v24, 0x604, v44
	v_add_u32_e32 v21, 0xc00, v20
	v_add3_u32 v23, 0, v23, v26
	v_add3_u32 v22, 0, v24, v22
	ds_write2_b32 v12, v38, v46 offset1:77
	ds_write2_b32 v12, v57, v79 offset0:154 offset1:231
	ds_write_b32 v12, v40 offset:1232
	ds_write2_b32 v17, v36, v47 offset1:77
	ds_write2_b32 v17, v59, v78 offset0:154 offset1:231
	ds_write_b32 v17, v39 offset:1232
	ds_write2_b32 v21, v37, v58 offset0:2 offset1:79
	ds_write2_b32 v21, v90, v74 offset0:156 offset1:233
	ds_write_b32 v20, v41 offset:4312
	ds_write2_b32 v23, v52, v96 offset1:77
	ds_write2_b32 v23, v98, v77 offset0:154 offset1:231
	ds_write_b32 v23, v93 offset:1232
	ds_write2_b32 v22, v99, v104 offset1:77
	ds_write2_b32 v22, v106, v3 offset0:154 offset1:231
	ds_write_b32 v22, v101 offset:1232
	v_lshl_add_u32 v3, v15, 2, 0
	v_add_u32_e32 v15, 0x1800, v3
	ds_write2_b32 v15, v54, v108 offset0:4 offset1:81
	ds_write2_b32 v15, v111, v4 offset0:158 offset1:235
	ds_write_b32 v3, v55 offset:7392
	s_waitcnt lgkmcnt(0)
	; wave barrier
	s_waitcnt lgkmcnt(0)
	ds_read_b32 v73, v119
	ds_read2_b32 v[40:41], v53 offset0:129 offset1:184
	ds_read2_b32 v[38:39], v62 offset0:75 offset1:130
	;; [unrolled: 1-line block ×8, first 2 shown]
	ds_read_b32 v77, v71
	ds_read_b32 v78, v69
	ds_read2_b32 v[58:59], v60 offset0:167 offset1:222
	ds_read2_b32 v[56:57], v61 offset0:169 offset1:224
	ds_read_b32 v74, v70
	ds_read_b32 v79, v72
	ds_read2_b32 v[62:63], v67 offset0:93 offset1:148
	ds_read2_b32 v[60:61], v68 offset0:95 offset1:150
	;; [unrolled: 1-line block ×5, first 2 shown]
	v_add_f32_e32 v14, v14, v134
	s_waitcnt lgkmcnt(0)
	; wave barrier
	s_waitcnt lgkmcnt(0)
	ds_write2_b32 v119, v14, v18 offset1:77
	ds_write2_b32 v119, v19, v82 offset0:154 offset1:231
	ds_write_b32 v119, v16 offset:1232
	ds_write2_b32 v12, v34, v83 offset1:77
	ds_write2_b32 v12, v84, v80 offset0:154 offset1:231
	ds_write_b32 v12, v35 offset:1232
	;; [unrolled: 3-line block ×3, first 2 shown]
	ds_write2_b32 v21, v89, v92 offset0:2 offset1:79
	ds_write2_b32 v21, v94, v51 offset0:156 offset1:233
	ds_write_b32 v20, v91 offset:4312
	ds_write2_b32 v23, v95, v100 offset1:77
	ds_write2_b32 v23, v102, v81 offset0:154 offset1:231
	ds_write_b32 v23, v97 offset:1232
	ds_write2_b32 v22, v103, v107 offset1:77
	ds_write2_b32 v22, v109, v5 offset0:154 offset1:231
	ds_write_b32 v22, v105 offset:1232
	ds_write2_b32 v15, v110, v113 offset0:4 offset1:81
	ds_write2_b32 v15, v31, v6 offset0:158 offset1:235
	ds_write_b32 v3, v112 offset:7392
	s_waitcnt lgkmcnt(0)
	; wave barrier
	s_waitcnt lgkmcnt(0)
	s_and_saveexec_b64 s[0:1], vcc
	s_cbranch_execz .LBB0_23
; %bb.22:
	v_lshlrev_b32_e32 v12, 2, v48
	v_lshlrev_b64 v[3:4], 3, v[12:13]
	v_mov_b32_e32 v76, s13
	v_add_co_u32_e32 v18, vcc, s12, v3
	v_addc_co_u32_e32 v19, vcc, v76, v4, vcc
	global_load_dwordx4 v[3:6], v[18:19], off offset:3024
	global_load_dwordx4 v[14:17], v[18:19], off offset:3040
	v_mul_lo_u32 v18, s5, v1
	v_mad_u64_u32 v[34:35], s[0:1], s4, v1, 0
	v_add_u32_e32 v1, 0xa00, v119
	v_add_u32_e32 v12, 0x1c00, v119
	;; [unrolled: 1-line block ×5, first 2 shown]
	ds_read2_b32 v[48:49], v1 offset0:75 offset1:130
	ds_read2_b32 v[28:29], v75 offset0:21 offset1:76
	;; [unrolled: 1-line block ×5, first 2 shown]
	v_lshlrev_b32_e32 v12, 2, v0
	v_lshlrev_b64 v[0:1], 3, v[12:13]
	v_mul_lo_u32 v2, s4, v2
	v_add_co_u32_e32 v0, vcc, s12, v0
	v_addc_co_u32_e32 v1, vcc, v76, v1, vcc
	global_load_dwordx4 v[80:83], v[0:1], off offset:3040
	global_load_dwordx4 v[84:87], v[0:1], off offset:3024
	v_add3_u32 v35, v35, v2, v18
	s_mov_b32 s0, 0x551c979b
	v_lshlrev_b64 v[34:35], 3, v[34:35]
	s_movk_i32 s1, 0x785
	s_waitcnt vmcnt(3)
	v_mul_f32_e32 v0, v38, v4
	v_mul_f32_e32 v1, v25, v6
	s_waitcnt vmcnt(2)
	v_mul_f32_e32 v2, v27, v17
	v_mul_f32_e32 v12, v42, v15
	s_waitcnt lgkmcnt(4)
	v_mul_f32_e32 v4, v48, v4
	s_waitcnt lgkmcnt(2)
	v_mul_f32_e32 v22, v31, v17
	v_mul_f32_e32 v6, v29, v6
	s_waitcnt lgkmcnt(1)
	v_mul_f32_e32 v64, v50, v15
	v_fma_f32 v0, v3, v48, -v0
	v_fma_f32 v1, v5, v29, -v1
	;; [unrolled: 1-line block ×4, first 2 shown]
	v_fmac_f32_e32 v4, v38, v3
	v_fmac_f32_e32 v22, v27, v16
	;; [unrolled: 1-line block ×4, first 2 shown]
	v_sub_f32_e32 v3, v0, v1
	v_sub_f32_e32 v5, v2, v12
	;; [unrolled: 1-line block ×4, first 2 shown]
	v_add_f32_e32 v48, v4, v22
	v_sub_f32_e32 v15, v4, v6
	v_sub_f32_e32 v16, v22, v64
	v_add_f32_e32 v3, v3, v5
	v_add_f32_e32 v5, v18, v19
	v_fma_f32 v18, -0.5, v48, v33
	v_sub_f32_e32 v29, v0, v2
	v_sub_f32_e32 v31, v1, v12
	v_add_f32_e32 v23, v0, v2
	v_add_f32_e32 v50, v15, v16
	v_mov_b32_e32 v16, v18
	s_waitcnt lgkmcnt(0)
	v_add_f32_e32 v0, v0, v67
	v_sub_f32_e32 v38, v6, v4
	v_sub_f32_e32 v42, v64, v22
	v_fmac_f32_e32 v18, 0x3f737871, v31
	v_fmac_f32_e32 v16, 0xbf737871, v31
	v_add_f32_e32 v0, v1, v0
	v_fma_f32 v19, -0.5, v23, v67
	v_add_f32_e32 v23, v38, v42
	v_fmac_f32_e32 v16, 0x3f167918, v29
	v_fmac_f32_e32 v18, 0xbf167918, v29
	v_add_f32_e32 v0, v12, v0
	v_fmac_f32_e32 v16, 0x3e9e377a, v23
	v_fmac_f32_e32 v18, 0x3e9e377a, v23
	v_add_f32_e32 v23, v2, v0
	v_add_f32_e32 v0, v33, v4
	;; [unrolled: 1-line block ×5, first 2 shown]
	v_sub_f32_e32 v25, v4, v22
	v_add_f32_e32 v22, v22, v0
	v_add_u32_e32 v0, 0x800, v119
	v_lshlrev_b32_e32 v12, 2, v7
	v_sub_f32_e32 v27, v6, v64
	v_add_f32_e32 v17, v6, v64
	v_fma_f32 v21, -0.5, v14, v67
	ds_read2_b32 v[64:65], v0 offset0:93 offset1:148
	v_lshlrev_b64 v[0:1], 3, v[12:13]
	v_fma_f32 v20, -0.5, v17, v33
	v_mov_b32_e32 v15, v21
	v_mov_b32_e32 v17, v19
	v_fmac_f32_e32 v19, 0xbf737871, v27
	v_fmac_f32_e32 v15, 0xbf737871, v25
	;; [unrolled: 1-line block ×4, first 2 shown]
	v_add_co_u32_e32 v67, vcc, s12, v0
	v_fmac_f32_e32 v19, 0x3f167918, v25
	v_fmac_f32_e32 v15, 0xbf167918, v27
	;; [unrolled: 1-line block ×4, first 2 shown]
	v_addc_co_u32_e32 v68, vcc, v76, v1, vcc
	v_fmac_f32_e32 v19, 0x3e9e377a, v5
	v_fmac_f32_e32 v15, 0x3e9e377a, v3
	;; [unrolled: 1-line block ×4, first 2 shown]
	global_load_dwordx4 v[0:3], v[67:68], off offset:3040
	global_load_dwordx4 v[4:7], v[67:68], off offset:3024
	s_waitcnt vmcnt(2)
	v_mul_f32_e32 v25, v24, v87
	v_fma_f32 v33, v86, v28, -v25
	v_add_u32_e32 v25, 0x1400, v119
	v_mov_b32_e32 v14, v20
	ds_read2_b32 v[67:68], v25 offset0:95 offset1:150
	v_fmac_f32_e32 v14, 0x3f737871, v29
	v_fmac_f32_e32 v20, 0xbf737871, v29
	;; [unrolled: 1-line block ×6, first 2 shown]
	v_mul_f32_e32 v27, v26, v83
	s_waitcnt lgkmcnt(1)
	v_mul_f32_e32 v50, v65, v85
	v_mul_f32_e32 v12, v63, v85
	v_fma_f32 v38, v82, v30, -v27
	v_mul_f32_e32 v27, v61, v81
	v_fmac_f32_e32 v50, v63, v84
	v_mul_f32_e32 v63, v30, v83
	s_waitcnt lgkmcnt(0)
	v_fma_f32 v42, v80, v68, -v27
	v_fmac_f32_e32 v63, v26, v82
	v_mul_f32_e32 v82, v28, v87
	v_mul_f32_e32 v68, v68, v81
	v_fma_f32 v12, v84, v65, -v12
	v_fmac_f32_e32 v82, v24, v86
	v_fmac_f32_e32 v68, v61, v80
	v_sub_f32_e32 v25, v12, v33
	v_sub_f32_e32 v27, v38, v42
	;; [unrolled: 1-line block ×4, first 2 shown]
	v_add_f32_e32 v48, v25, v27
	v_add_f32_e32 v80, v24, v26
	v_sub_f32_e32 v26, v33, v12
	v_sub_f32_e32 v27, v42, v38
	;; [unrolled: 1-line block ×3, first 2 shown]
	v_add_f32_e32 v84, v26, v27
	v_add_f32_e32 v26, v12, v38
	;; [unrolled: 1-line block ×5, first 2 shown]
	v_fma_f32 v31, -0.5, v26, v66
	v_sub_f32_e32 v26, v82, v50
	v_sub_f32_e32 v30, v68, v63
	v_add_f32_e32 v12, v42, v12
	v_add_f32_e32 v25, v33, v42
	v_fma_f32 v28, -0.5, v24, v32
	v_sub_f32_e32 v83, v33, v42
	v_add_f32_e32 v85, v26, v30
	v_add_f32_e32 v26, v50, v63
	;; [unrolled: 1-line block ×4, first 2 shown]
	v_mov_b32_e32 v24, v28
	v_fma_f32 v30, -0.5, v26, v32
	v_add_f32_e32 v12, v12, v82
	v_fmac_f32_e32 v24, 0x3f737871, v81
	v_mov_b32_e32 v26, v30
	v_fmac_f32_e32 v28, 0xbf737871, v81
	v_add_f32_e32 v12, v12, v68
	v_fmac_f32_e32 v24, 0x3f167918, v83
	v_fmac_f32_e32 v26, 0xbf737871, v83
	;; [unrolled: 1-line block ×4, first 2 shown]
	v_add_f32_e32 v32, v63, v12
	v_lshlrev_b32_e32 v12, 2, v118
	v_fmac_f32_e32 v24, 0x3e9e377a, v80
	v_fmac_f32_e32 v26, 0x3f167918, v81
	v_fmac_f32_e32 v30, 0xbf167918, v81
	v_fmac_f32_e32 v28, 0x3e9e377a, v80
	v_lshlrev_b64 v[80:81], 3, v[12:13]
	v_fma_f32 v29, -0.5, v25, v66
	v_sub_f32_e32 v61, v82, v68
	v_mov_b32_e32 v27, v31
	v_sub_f32_e32 v65, v50, v63
	v_mov_b32_e32 v25, v29
	v_fmac_f32_e32 v27, 0x3f737871, v61
	v_fmac_f32_e32 v31, 0xbf737871, v61
	v_add_u32_e32 v38, 0xc00, v119
	v_add_co_u32_e32 v88, vcc, s12, v80
	v_fmac_f32_e32 v25, 0xbf737871, v65
	s_waitcnt vmcnt(0)
	v_mul_f32_e32 v42, v62, v5
	v_fmac_f32_e32 v27, 0xbf167918, v65
	v_fmac_f32_e32 v31, 0x3f167918, v65
	;; [unrolled: 1-line block ×3, first 2 shown]
	ds_read2_b32 v[65:66], v38 offset0:167 offset1:222
	v_addc_co_u32_e32 v89, vcc, v76, v81, vcc
	v_fma_f32 v12, v4, v64, -v42
	v_add_u32_e32 v42, 0x1800, v119
	v_fmac_f32_e32 v27, 0x3e9e377a, v84
	v_fmac_f32_e32 v26, 0x3e9e377a, v85
	;; [unrolled: 1-line block ×4, first 2 shown]
	global_load_dwordx4 v[80:83], v[88:89], off offset:3040
	global_load_dwordx4 v[84:87], v[88:89], off offset:3024
	ds_read2_b32 v[96:97], v42 offset0:169 offset1:224
	v_fmac_f32_e32 v25, 0xbf167918, v61
	v_fmac_f32_e32 v29, 0x3f167918, v61
	;; [unrolled: 1-line block ×4, first 2 shown]
	v_mul_f32_e32 v48, v59, v7
	v_mul_f32_e32 v64, v64, v5
	s_waitcnt lgkmcnt(1)
	v_mul_f32_e32 v7, v66, v7
	v_mul_f32_e32 v61, v57, v3
	ds_read_b32 v72, v72
	ds_read_b32 v104, v119
	v_fmac_f32_e32 v64, v62, v4
	s_waitcnt lgkmcnt(2)
	v_mul_f32_e32 v62, v97, v3
	v_fmac_f32_e32 v7, v59, v6
	v_mul_f32_e32 v59, v67, v1
	v_fma_f32 v63, v2, v97, -v61
	v_mul_f32_e32 v61, v60, v1
	v_fmac_f32_e32 v62, v57, v2
	v_fmac_f32_e32 v59, v60, v0
	v_fma_f32 v48, v6, v66, -v48
	v_fma_f32 v68, v0, v67, -v61
	v_sub_f32_e32 v1, v64, v7
	v_sub_f32_e32 v3, v62, v59
	v_add_f32_e32 v66, v1, v3
	v_sub_f32_e32 v3, v48, v12
	v_sub_f32_e32 v4, v68, v63
	;; [unrolled: 1-line block ×4, first 2 shown]
	v_add_f32_e32 v89, v3, v4
	v_add_f32_e32 v3, v12, v63
	;; [unrolled: 1-line block ×5, first 2 shown]
	s_waitcnt lgkmcnt(1)
	v_fma_f32 v6, -0.5, v3, v72
	v_sub_f32_e32 v3, v7, v64
	v_sub_f32_e32 v5, v59, v62
	v_fma_f32 v61, -0.5, v61, v72
	v_fma_f32 v60, -0.5, v1, v79
	v_add_f32_e32 v90, v3, v5
	v_add_f32_e32 v3, v64, v62
	v_sub_f32_e32 v57, v64, v62
	v_mov_b32_e32 v2, v61
	v_sub_f32_e32 v67, v12, v63
	v_mov_b32_e32 v1, v60
	v_fma_f32 v5, -0.5, v3, v79
	v_fmac_f32_e32 v2, 0xbf737871, v57
	v_sub_f32_e32 v0, v7, v59
	v_fmac_f32_e32 v1, 0x3f737871, v67
	v_sub_f32_e32 v88, v48, v68
	v_mov_b32_e32 v4, v6
	v_mov_b32_e32 v3, v5
	v_fmac_f32_e32 v61, 0x3f737871, v57
	v_fmac_f32_e32 v60, 0xbf737871, v67
	;; [unrolled: 1-line block ×10, first 2 shown]
	v_add_f32_e32 v0, v12, v72
	v_lshlrev_b32_e32 v12, 2, v117
	v_fmac_f32_e32 v1, 0x3e9e377a, v66
	v_fmac_f32_e32 v3, 0x3f167918, v67
	;; [unrolled: 1-line block ×4, first 2 shown]
	v_lshlrev_b64 v[66:67], 3, v[12:13]
	v_fmac_f32_e32 v4, 0xbf167918, v57
	v_add_co_u32_e32 v66, vcc, s12, v66
	v_fmac_f32_e32 v6, 0x3f167918, v57
	v_addc_co_u32_e32 v67, vcc, v76, v67, vcc
	v_fmac_f32_e32 v4, 0x3e9e377a, v89
	v_fmac_f32_e32 v3, 0x3e9e377a, v90
	;; [unrolled: 1-line block ×4, first 2 shown]
	global_load_dwordx4 v[88:91], v[66:67], off offset:3040
	global_load_dwordx4 v[92:95], v[66:67], off offset:3024
	v_add_f32_e32 v0, v48, v0
	v_add_f32_e32 v0, v68, v0
	v_add_f32_e32 v63, v63, v0
	v_add_f32_e32 v0, v79, v64
	v_add_f32_e32 v0, v0, v7
	v_add_u32_e32 v7, 0x600, v119
	ds_read2_b32 v[97:98], v7 offset0:111 offset1:166
	v_add_u32_e32 v7, 0x1200, v119
	ds_read2_b32 v[99:100], v7 offset0:113 offset1:168
	v_add_f32_e32 v0, v0, v59
	ds_read_b32 v68, v69
	v_fmac_f32_e32 v2, 0x3e9e377a, v50
	v_fmac_f32_e32 v61, 0x3e9e377a, v50
	v_add_f32_e32 v62, v62, v0
	s_waitcnt vmcnt(2)
	v_mul_f32_e32 v0, v58, v87
	v_mul_f32_e32 v7, v55, v85
	;; [unrolled: 1-line block ×4, first 2 shown]
	v_fma_f32 v0, v86, v65, -v0
	s_waitcnt lgkmcnt(2)
	v_fma_f32 v7, v84, v98, -v7
	s_waitcnt lgkmcnt(1)
	v_fma_f32 v48, v80, v100, -v48
	v_fma_f32 v50, v82, v96, -v50
	v_mul_f32_e32 v72, v100, v81
	v_sub_f32_e32 v12, v0, v7
	v_sub_f32_e32 v57, v48, v50
	v_mul_f32_e32 v59, v65, v87
	v_fmac_f32_e32 v72, v53, v80
	v_mul_f32_e32 v79, v98, v85
	v_mul_f32_e32 v80, v96, v83
	v_add_f32_e32 v12, v12, v57
	v_fmac_f32_e32 v59, v58, v86
	v_add_f32_e32 v57, v7, v50
	v_fmac_f32_e32 v79, v55, v84
	v_fmac_f32_e32 v80, v56, v82
	s_waitcnt lgkmcnt(0)
	v_fma_f32 v65, -0.5, v57, v68
	v_sub_f32_e32 v55, v59, v79
	v_sub_f32_e32 v56, v72, v80
	;; [unrolled: 1-line block ×3, first 2 shown]
	v_mov_b32_e32 v58, v65
	v_add_f32_e32 v82, v55, v56
	v_add_f32_e32 v55, v79, v80
	v_fmac_f32_e32 v58, 0x3f737871, v53
	v_sub_f32_e32 v81, v79, v80
	v_fma_f32 v64, -0.5, v55, v78
	v_sub_f32_e32 v55, v7, v0
	v_sub_f32_e32 v56, v50, v48
	v_fmac_f32_e32 v65, 0xbf737871, v53
	v_fmac_f32_e32 v58, 0xbf167918, v81
	v_sub_f32_e32 v83, v7, v50
	v_add_f32_e32 v85, v55, v56
	v_add_f32_e32 v55, v0, v48
	;; [unrolled: 1-line block ×3, first 2 shown]
	v_fmac_f32_e32 v65, 0x3f167918, v81
	v_fmac_f32_e32 v58, 0x3e9e377a, v12
	v_sub_f32_e32 v84, v0, v48
	v_fma_f32 v56, -0.5, v55, v68
	v_sub_f32_e32 v55, v79, v59
	v_sub_f32_e32 v66, v80, v72
	v_add_f32_e32 v0, v0, v7
	v_fmac_f32_e32 v65, 0x3e9e377a, v12
	v_lshlrev_b32_e32 v12, 2, v116
	v_add_f32_e32 v86, v55, v66
	v_add_f32_e32 v55, v59, v72
	;; [unrolled: 1-line block ×3, first 2 shown]
	ds_read2_b32 v[102:103], v42 offset0:59 offset1:114
	v_lshlrev_b64 v[12:13], 3, v[12:13]
	v_mov_b32_e32 v57, v64
	v_mov_b32_e32 v67, v56
	v_fma_f32 v55, -0.5, v55, v78
	v_add_f32_e32 v69, v50, v0
	v_add_f32_e32 v0, v78, v79
	ds_read2_b32 v[100:101], v38 offset0:57 offset1:112
	v_fmac_f32_e32 v57, 0xbf737871, v84
	v_fmac_f32_e32 v67, 0x3f737871, v81
	v_mov_b32_e32 v66, v55
	v_add_f32_e32 v0, v59, v0
	v_fmac_f32_e32 v56, 0xbf737871, v81
	v_fmac_f32_e32 v64, 0x3f737871, v84
	v_add_co_u32_e32 v12, vcc, s12, v12
	v_fmac_f32_e32 v57, 0x3f167918, v83
	v_fmac_f32_e32 v67, 0x3f167918, v53
	;; [unrolled: 1-line block ×3, first 2 shown]
	v_add_f32_e32 v0, v0, v72
	v_fmac_f32_e32 v56, 0xbf167918, v53
	v_fmac_f32_e32 v64, 0xbf167918, v83
	;; [unrolled: 1-line block ×3, first 2 shown]
	v_addc_co_u32_e32 v13, vcc, v76, v13, vcc
	v_fmac_f32_e32 v57, 0x3e9e377a, v82
	v_fmac_f32_e32 v67, 0x3e9e377a, v85
	;; [unrolled: 1-line block ×3, first 2 shown]
	v_add_f32_e32 v68, v0, v80
	v_fmac_f32_e32 v56, 0x3e9e377a, v85
	v_fmac_f32_e32 v64, 0x3e9e377a, v82
	;; [unrolled: 1-line block ×3, first 2 shown]
	global_load_dwordx4 v[78:81], v[12:13], off offset:3040
	global_load_dwordx4 v[82:85], v[12:13], off offset:3024
	s_waitcnt vmcnt(3)
	v_mul_f32_e32 v13, v47, v91
	ds_read_b32 v50, v71
	ds_read_b32 v72, v70
	s_waitcnt vmcnt(2)
	v_mul_f32_e32 v0, v54, v93
	v_mul_f32_e32 v7, v45, v95
	s_waitcnt lgkmcnt(3)
	v_fma_f32 v38, v90, v103, -v13
	v_mul_f32_e32 v13, v52, v89
	v_fma_f32 v0, v92, v97, -v0
	s_waitcnt lgkmcnt(2)
	v_fma_f32 v7, v94, v101, -v7
	v_fma_f32 v42, v88, v99, -v13
	v_mul_f32_e32 v76, v97, v93
	v_mul_f32_e32 v87, v101, v95
	v_sub_f32_e32 v12, v0, v7
	v_sub_f32_e32 v13, v38, v42
	v_fmac_f32_e32 v76, v54, v92
	v_mul_f32_e32 v54, v103, v91
	v_fmac_f32_e32 v87, v45, v94
	v_mul_f32_e32 v45, v99, v89
	v_add_f32_e32 v59, v12, v13
	v_add_f32_e32 v12, v7, v42
	v_fmac_f32_e32 v54, v47, v90
	v_fmac_f32_e32 v45, v52, v88
	s_waitcnt lgkmcnt(1)
	v_fma_f32 v53, -0.5, v12, v50
	v_sub_f32_e32 v12, v76, v87
	v_sub_f32_e32 v47, v54, v45
	v_add_f32_e32 v89, v12, v47
	v_sub_f32_e32 v47, v7, v0
	v_sub_f32_e32 v48, v42, v38
	v_add_f32_e32 v92, v47, v48
	v_add_f32_e32 v47, v0, v38
	v_fma_f32 v71, -0.5, v47, v50
	v_sub_f32_e32 v47, v87, v76
	v_sub_f32_e32 v70, v45, v54
	v_add_f32_e32 v12, v87, v45
	v_add_f32_e32 v93, v47, v70
	;; [unrolled: 1-line block ×3, first 2 shown]
	v_fma_f32 v52, -0.5, v12, v77
	v_sub_f32_e32 v90, v0, v38
	v_fma_f32 v70, -0.5, v47, v77
	v_add_f32_e32 v0, v0, v50
	v_sub_f32_e32 v88, v87, v45
	v_mov_b32_e32 v12, v52
	v_sub_f32_e32 v91, v7, v42
	v_mov_b32_e32 v48, v71
	v_mov_b32_e32 v47, v70
	v_add_f32_e32 v0, v7, v0
	v_fmac_f32_e32 v66, 0x3e9e377a, v86
	v_fmac_f32_e32 v55, 0x3e9e377a, v86
	v_sub_f32_e32 v86, v76, v54
	v_mov_b32_e32 v13, v53
	v_fmac_f32_e32 v12, 0x3f737871, v90
	v_fmac_f32_e32 v48, 0x3f737871, v88
	;; [unrolled: 1-line block ×6, first 2 shown]
	v_add_f32_e32 v0, v42, v0
	v_fmac_f32_e32 v13, 0xbf737871, v86
	v_fmac_f32_e32 v12, 0x3f167918, v91
	;; [unrolled: 1-line block ×8, first 2 shown]
	v_add_f32_e32 v95, v38, v0
	v_add_f32_e32 v0, v77, v76
	v_add_u32_e32 v7, 0x400, v119
	v_fmac_f32_e32 v13, 0xbf167918, v88
	v_fmac_f32_e32 v12, 0x3e9e377a, v89
	;; [unrolled: 1-line block ×8, first 2 shown]
	v_add_f32_e32 v0, v0, v87
	ds_read2_b32 v[76:77], v7 offset0:129 offset1:184
	global_load_dwordx4 v[86:89], v[10:11], off offset:3040
	global_load_dwordx4 v[90:93], v[10:11], off offset:3024
	ds_read2_b32 v[10:11], v75 offset0:131 offset1:186
	v_add_f32_e32 v0, v0, v45
	s_waitcnt vmcnt(3)
	v_mul_f32_e32 v42, v46, v81
	v_add_f32_e32 v94, v54, v0
	s_waitcnt vmcnt(2)
	v_mul_f32_e32 v0, v41, v83
	v_mul_f32_e32 v7, v44, v85
	v_fma_f32 v50, v80, v102, -v42
	v_mul_f32_e32 v42, v37, v79
	v_mul_f32_e32 v81, v102, v81
	s_waitcnt lgkmcnt(1)
	v_fma_f32 v0, v82, v77, -v0
	v_fma_f32 v7, v84, v100, -v7
	s_waitcnt lgkmcnt(0)
	v_fma_f32 v54, v78, v11, -v42
	v_fmac_f32_e32 v81, v46, v80
	v_mul_f32_e32 v80, v100, v85
	v_fmac_f32_e32 v80, v44, v84
	v_sub_f32_e32 v44, v7, v0
	v_sub_f32_e32 v45, v54, v50
	v_mul_f32_e32 v11, v11, v79
	v_add_f32_e32 v75, v44, v45
	v_add_f32_e32 v44, v0, v50
	v_mul_f32_e32 v83, v77, v83
	v_fmac_f32_e32 v11, v37, v78
	v_fma_f32 v45, -0.5, v44, v72
	v_sub_f32_e32 v38, v0, v7
	v_fmac_f32_e32 v83, v41, v82
	v_sub_f32_e32 v79, v80, v11
	v_sub_f32_e32 v84, v0, v50
	v_mov_b32_e32 v78, v45
	v_add_f32_e32 v0, v0, v72
	v_sub_f32_e32 v46, v83, v81
	v_fmac_f32_e32 v78, 0x3f737871, v79
	v_fmac_f32_e32 v45, 0xbf737871, v79
	v_add_f32_e32 v0, v7, v0
	v_sub_f32_e32 v42, v50, v54
	v_fmac_f32_e32 v78, 0xbf167918, v46
	v_fmac_f32_e32 v45, 0x3f167918, v46
	v_add_f32_e32 v0, v54, v0
	v_fmac_f32_e32 v13, 0x3e9e377a, v59
	v_fmac_f32_e32 v53, 0x3e9e377a, v59
	v_add_f32_e32 v59, v38, v42
	v_add_f32_e32 v38, v7, v54
	v_fmac_f32_e32 v78, 0x3e9e377a, v75
	v_fmac_f32_e32 v45, 0x3e9e377a, v75
	v_add_f32_e32 v75, v50, v0
	v_add_f32_e32 v0, v74, v83
	v_fma_f32 v38, -0.5, v38, v72
	v_sub_f32_e32 v37, v83, v80
	v_sub_f32_e32 v41, v81, v11
	v_sub_f32_e32 v44, v80, v83
	v_sub_f32_e32 v77, v11, v81
	v_add_f32_e32 v0, v0, v80
	v_mov_b32_e32 v42, v38
	v_add_f32_e32 v82, v37, v41
	v_add_f32_e32 v37, v80, v11
	;; [unrolled: 1-line block ×5, first 2 shown]
	v_fmac_f32_e32 v42, 0xbf737871, v46
	v_fma_f32 v37, -0.5, v37, v74
	v_sub_f32_e32 v85, v7, v54
	v_fma_f32 v44, -0.5, v44, v74
	v_add_f32_e32 v74, v81, v0
	v_fmac_f32_e32 v38, 0x3f737871, v46
	v_fmac_f32_e32 v42, 0xbf167918, v79
	v_mov_b32_e32 v41, v37
	v_fmac_f32_e32 v38, 0x3f167918, v79
	v_fmac_f32_e32 v42, 0x3e9e377a, v59
	v_fmac_f32_e32 v41, 0x3f737871, v84
	v_mov_b32_e32 v77, v44
	v_fmac_f32_e32 v38, 0x3e9e377a, v59
	v_fmac_f32_e32 v37, 0xbf737871, v84
	;; [unrolled: 1-line block ×9, first 2 shown]
	s_waitcnt vmcnt(1)
	v_mul_f32_e32 v46, v43, v89
	s_waitcnt vmcnt(0)
	v_mul_f32_e32 v0, v40, v91
	v_mul_f32_e32 v7, v39, v93
	;; [unrolled: 1-line block ×3, first 2 shown]
	v_fma_f32 v0, v90, v76, -v0
	v_fma_f32 v7, v92, v49, -v7
	;; [unrolled: 1-line block ×4, first 2 shown]
	v_sub_f32_e32 v11, v0, v7
	v_sub_f32_e32 v50, v46, v54
	v_add_f32_e32 v59, v11, v50
	v_add_f32_e32 v11, v7, v54
	v_mul_f32_e32 v72, v76, v91
	v_mul_f32_e32 v51, v51, v89
	;; [unrolled: 1-line block ×3, first 2 shown]
	v_sub_f32_e32 v49, v7, v0
	v_sub_f32_e32 v50, v54, v46
	v_fma_f32 v11, -0.5, v11, v104
	v_fmac_f32_e32 v72, v40, v90
	v_fmac_f32_e32 v51, v43, v88
	v_mul_f32_e32 v83, v10, v87
	v_add_f32_e32 v85, v49, v50
	v_add_f32_e32 v49, v0, v46
	v_sub_f32_e32 v43, v72, v51
	v_mov_b32_e32 v40, v11
	v_fmac_f32_e32 v76, v39, v92
	v_fmac_f32_e32 v83, v36, v86
	v_fma_f32 v50, -0.5, v49, v104
	v_fmac_f32_e32 v40, 0xbf737871, v43
	v_sub_f32_e32 v36, v76, v83
	v_mov_b32_e32 v80, v50
	v_fmac_f32_e32 v11, 0x3f737871, v43
	v_fmac_f32_e32 v40, 0xbf167918, v36
	;; [unrolled: 1-line block ×5, first 2 shown]
	v_mul_hi_u32 v36, v115, s0
	v_sub_f32_e32 v10, v72, v76
	v_sub_f32_e32 v39, v51, v83
	v_add_f32_e32 v81, v10, v39
	v_add_f32_e32 v10, v76, v83
	v_sub_f32_e32 v49, v76, v72
	v_sub_f32_e32 v79, v83, v51
	v_fma_f32 v10, -0.5, v10, v73
	v_sub_f32_e32 v82, v0, v46
	v_add_f32_e32 v86, v49, v79
	v_add_f32_e32 v49, v72, v51
	;; [unrolled: 1-line block ×3, first 2 shown]
	v_fmac_f32_e32 v44, 0xbf167918, v84
	v_mov_b32_e32 v39, v10
	v_sub_f32_e32 v84, v7, v54
	v_fma_f32 v49, -0.5, v49, v73
	v_add_f32_e32 v0, v7, v0
	v_lshrrev_b32_e32 v7, 7, v36
	v_fmac_f32_e32 v39, 0x3f737871, v82
	v_mov_b32_e32 v79, v49
	v_fmac_f32_e32 v10, 0xbf737871, v82
	v_mul_u32_u24_e32 v7, 0x181, v7
	v_fmac_f32_e32 v39, 0x3f167918, v84
	v_fmac_f32_e32 v80, 0xbf167918, v43
	;; [unrolled: 1-line block ×6, first 2 shown]
	v_sub_u32_e32 v43, v115, v7
	v_fmac_f32_e32 v39, 0x3e9e377a, v81
	v_fmac_f32_e32 v79, 0x3f167918, v82
	;; [unrolled: 1-line block ×4, first 2 shown]
	v_mad_u64_u32 v[81:82], s[4:5], s2, v43, 0
	v_add_f32_e32 v0, v54, v0
	v_add_f32_e32 v84, v46, v0
	;; [unrolled: 1-line block ×3, first 2 shown]
	v_mov_b32_e32 v0, v82
	v_mad_u64_u32 v[72:73], s[4:5], s3, v43, v[0:1]
	v_add_f32_e32 v0, v7, v76
	v_add_f32_e32 v0, v0, v83
	;; [unrolled: 1-line block ×3, first 2 shown]
	v_mov_b32_e32 v0, s11
	v_add_co_u32_e32 v36, vcc, s10, v34
	v_add_u32_e32 v51, 0x181, v43
	v_addc_co_u32_e32 v46, vcc, v0, v35, vcc
	v_mad_u64_u32 v[34:35], s[4:5], s2, v51, 0
	v_lshlrev_b64 v[7:8], 3, v[8:9]
	v_mov_b32_e32 v82, v72
	v_add_co_u32_e32 v0, vcc, v36, v7
	v_addc_co_u32_e32 v7, vcc, v46, v8, vcc
	v_lshlrev_b64 v[8:9], 3, v[81:82]
	v_mad_u64_u32 v[35:36], s[4:5], s3, v51, v[35:36]
	v_add_co_u32_e32 v8, vcc, v0, v8
	v_addc_co_u32_e32 v9, vcc, v7, v9, vcc
	v_add_u32_e32 v36, 0x302, v43
	global_store_dwordx2 v[8:9], v[83:84], off
	v_lshlrev_b64 v[8:9], 3, v[34:35]
	v_mad_u64_u32 v[34:35], s[4:5], s2, v36, 0
	v_add_co_u32_e32 v8, vcc, v0, v8
	v_mad_u64_u32 v[35:36], s[4:5], s3, v36, v[35:36]
	v_add_u32_e32 v36, 0x483, v43
	v_mad_u64_u32 v[72:73], s[4:5], s2, v36, 0
	v_fmac_f32_e32 v11, 0x3e9e377a, v59
	v_addc_co_u32_e32 v9, vcc, v7, v9, vcc
	global_store_dwordx2 v[8:9], v[10:11], off
	v_mov_b32_e32 v10, v73
	v_mad_u64_u32 v[10:11], s[4:5], s3, v36, v[10:11]
	v_lshlrev_b64 v[8:9], 3, v[34:35]
	v_add_u32_e32 v34, 0x604, v43
	v_mov_b32_e32 v73, v10
	v_mad_u64_u32 v[10:11], s[4:5], s2, v34, 0
	v_add_co_u32_e32 v8, vcc, v0, v8
	v_mad_u64_u32 v[34:35], s[4:5], s3, v34, v[11:12]
	v_fmac_f32_e32 v50, 0x3e9e377a, v85
	v_fmac_f32_e32 v49, 0x3e9e377a, v86
	v_addc_co_u32_e32 v9, vcc, v7, v9, vcc
	v_add_u32_e32 v35, 55, v115
	global_store_dwordx2 v[8:9], v[49:50], off
	v_lshlrev_b64 v[8:9], 3, v[72:73]
	v_mul_hi_u32 v36, v35, s0
	v_add_co_u32_e32 v8, vcc, v0, v8
	v_fmac_f32_e32 v80, 0x3e9e377a, v85
	v_fmac_f32_e32 v79, 0x3e9e377a, v86
	v_addc_co_u32_e32 v9, vcc, v7, v9, vcc
	v_mov_b32_e32 v11, v34
	global_store_dwordx2 v[8:9], v[79:80], off
	v_lshlrev_b64 v[8:9], 3, v[10:11]
	v_lshrrev_b32_e32 v10, 7, v36
	v_mul_u32_u24_e32 v11, 0x181, v10
	v_sub_u32_e32 v11, v35, v11
	v_mad_u32_u24 v43, v10, s1, v11
	v_mad_u64_u32 v[10:11], s[4:5], s2, v43, 0
	v_add_u32_e32 v46, 0x181, v43
	v_add_co_u32_e32 v8, vcc, v0, v8
	v_mad_u64_u32 v[34:35], s[4:5], s3, v43, v[11:12]
	v_mad_u64_u32 v[35:36], s[4:5], s2, v46, 0
	v_fmac_f32_e32 v40, 0x3e9e377a, v59
	v_addc_co_u32_e32 v9, vcc, v7, v9, vcc
	v_mov_b32_e32 v11, v34
	global_store_dwordx2 v[8:9], v[39:40], off
	v_lshlrev_b64 v[8:9], 3, v[10:11]
	v_mov_b32_e32 v10, v36
	v_mad_u64_u32 v[10:11], s[4:5], s3, v46, v[10:11]
	v_add_u32_e32 v34, 0x302, v43
	v_add_co_u32_e32 v8, vcc, v0, v8
	v_mov_b32_e32 v36, v10
	v_mad_u64_u32 v[10:11], s[4:5], s2, v34, 0
	v_addc_co_u32_e32 v9, vcc, v7, v9, vcc
	global_store_dwordx2 v[8:9], v[74:75], off
	v_lshlrev_b64 v[8:9], 3, v[35:36]
	v_mad_u64_u32 v[34:35], s[4:5], s3, v34, v[11:12]
	v_add_u32_e32 v39, 0x483, v43
	v_mad_u64_u32 v[35:36], s[4:5], s2, v39, 0
	v_add_co_u32_e32 v8, vcc, v0, v8
	v_addc_co_u32_e32 v9, vcc, v7, v9, vcc
	v_mov_b32_e32 v11, v34
	global_store_dwordx2 v[8:9], v[37:38], off
	v_lshlrev_b64 v[8:9], 3, v[10:11]
	v_mov_b32_e32 v10, v36
	v_mad_u64_u32 v[10:11], s[4:5], s3, v39, v[10:11]
	v_add_u32_e32 v34, 0x604, v43
	v_add_co_u32_e32 v8, vcc, v0, v8
	v_mov_b32_e32 v36, v10
	v_mad_u64_u32 v[10:11], s[4:5], s2, v34, 0
	v_fmac_f32_e32 v44, 0x3e9e377a, v96
	v_addc_co_u32_e32 v9, vcc, v7, v9, vcc
	global_store_dwordx2 v[8:9], v[44:45], off
	v_lshlrev_b64 v[8:9], 3, v[35:36]
	v_mad_u64_u32 v[34:35], s[4:5], s3, v34, v[11:12]
	v_add_u32_e32 v35, 0x6e, v115
	v_mul_hi_u32 v36, v35, s0
	v_add_co_u32_e32 v8, vcc, v0, v8
	v_fmac_f32_e32 v77, 0x3e9e377a, v96
	v_addc_co_u32_e32 v9, vcc, v7, v9, vcc
	v_mov_b32_e32 v11, v34
	global_store_dwordx2 v[8:9], v[77:78], off
	v_lshlrev_b64 v[8:9], 3, v[10:11]
	v_lshrrev_b32_e32 v10, 7, v36
	v_mul_u32_u24_e32 v11, 0x181, v10
	v_sub_u32_e32 v11, v35, v11
	v_mad_u32_u24 v37, v10, s1, v11
	v_mad_u64_u32 v[10:11], s[4:5], s2, v37, 0
	v_add_u32_e32 v38, 0x181, v37
	v_add_co_u32_e32 v8, vcc, v0, v8
	v_mad_u64_u32 v[34:35], s[4:5], s3, v37, v[11:12]
	v_mad_u64_u32 v[35:36], s[4:5], s2, v38, 0
	v_addc_co_u32_e32 v9, vcc, v7, v9, vcc
	v_mov_b32_e32 v11, v34
	global_store_dwordx2 v[8:9], v[41:42], off
	v_lshlrev_b64 v[8:9], 3, v[10:11]
	v_mov_b32_e32 v10, v36
	v_mad_u64_u32 v[10:11], s[4:5], s3, v38, v[10:11]
	v_add_u32_e32 v34, 0x302, v37
	v_add_co_u32_e32 v8, vcc, v0, v8
	v_mov_b32_e32 v36, v10
	v_mad_u64_u32 v[10:11], s[4:5], s2, v34, 0
	v_addc_co_u32_e32 v9, vcc, v7, v9, vcc
	global_store_dwordx2 v[8:9], v[94:95], off
	v_lshlrev_b64 v[8:9], 3, v[35:36]
	v_mad_u64_u32 v[34:35], s[4:5], s3, v34, v[11:12]
	v_add_u32_e32 v38, 0x483, v37
	v_mad_u64_u32 v[35:36], s[4:5], s2, v38, 0
	v_add_co_u32_e32 v8, vcc, v0, v8
	v_addc_co_u32_e32 v9, vcc, v7, v9, vcc
	v_mov_b32_e32 v11, v34
	global_store_dwordx2 v[8:9], v[52:53], off
	v_lshlrev_b64 v[8:9], 3, v[10:11]
	v_mov_b32_e32 v10, v36
	v_mad_u64_u32 v[10:11], s[4:5], s3, v38, v[10:11]
	v_add_u32_e32 v34, 0x604, v37
	v_add_co_u32_e32 v8, vcc, v0, v8
	v_mov_b32_e32 v36, v10
	v_mad_u64_u32 v[10:11], s[4:5], s2, v34, 0
	v_addc_co_u32_e32 v9, vcc, v7, v9, vcc
	global_store_dwordx2 v[8:9], v[70:71], off
	v_lshlrev_b64 v[8:9], 3, v[35:36]
	v_mad_u64_u32 v[34:35], s[4:5], s3, v34, v[11:12]
	v_add_u32_e32 v35, 0xa5, v115
	v_mul_hi_u32 v36, v35, s0
	v_add_co_u32_e32 v8, vcc, v0, v8
	v_addc_co_u32_e32 v9, vcc, v7, v9, vcc
	v_mov_b32_e32 v11, v34
	global_store_dwordx2 v[8:9], v[47:48], off
	v_lshlrev_b64 v[8:9], 3, v[10:11]
	v_lshrrev_b32_e32 v10, 7, v36
	v_mul_u32_u24_e32 v11, 0x181, v10
	v_sub_u32_e32 v11, v35, v11
	v_mad_u32_u24 v37, v10, s1, v11
	v_mad_u64_u32 v[10:11], s[4:5], s2, v37, 0
	v_add_u32_e32 v38, 0x181, v37
	v_add_co_u32_e32 v8, vcc, v0, v8
	v_mad_u64_u32 v[34:35], s[4:5], s3, v37, v[11:12]
	v_mad_u64_u32 v[35:36], s[4:5], s2, v38, 0
	v_addc_co_u32_e32 v9, vcc, v7, v9, vcc
	v_mov_b32_e32 v11, v34
	global_store_dwordx2 v[8:9], v[12:13], off
	v_lshlrev_b64 v[8:9], 3, v[10:11]
	v_mov_b32_e32 v10, v36
	v_mad_u64_u32 v[10:11], s[4:5], s3, v38, v[10:11]
	v_add_u32_e32 v12, 0x302, v37
	v_add_co_u32_e32 v8, vcc, v0, v8
	v_mov_b32_e32 v36, v10
	v_mad_u64_u32 v[10:11], s[4:5], s2, v12, 0
	v_addc_co_u32_e32 v9, vcc, v7, v9, vcc
	v_mad_u64_u32 v[11:12], s[4:5], s3, v12, v[11:12]
	v_add_u32_e32 v34, 0x483, v37
	global_store_dwordx2 v[8:9], v[68:69], off
	v_lshlrev_b64 v[8:9], 3, v[35:36]
	v_mad_u64_u32 v[12:13], s[4:5], s2, v34, 0
	v_add_co_u32_e32 v8, vcc, v0, v8
	v_addc_co_u32_e32 v9, vcc, v7, v9, vcc
	global_store_dwordx2 v[8:9], v[66:67], off
	v_lshlrev_b64 v[8:9], 3, v[10:11]
	v_mov_b32_e32 v10, v13
	v_mad_u64_u32 v[10:11], s[4:5], s3, v34, v[10:11]
	v_add_co_u32_e32 v8, vcc, v0, v8
	v_addc_co_u32_e32 v9, vcc, v7, v9, vcc
	v_mov_b32_e32 v13, v10
	global_store_dwordx2 v[8:9], v[64:65], off
	v_lshlrev_b64 v[8:9], 3, v[12:13]
	v_add_u32_e32 v12, 0x604, v37
	v_mad_u64_u32 v[10:11], s[4:5], s2, v12, 0
	v_add_co_u32_e32 v8, vcc, v0, v8
	v_mad_u64_u32 v[11:12], s[4:5], s3, v12, v[11:12]
	v_add_u32_e32 v12, 0xdc, v115
	v_mul_hi_u32 v13, v12, s0
	v_addc_co_u32_e32 v9, vcc, v7, v9, vcc
	global_store_dwordx2 v[8:9], v[57:58], off
	v_lshlrev_b64 v[8:9], 3, v[10:11]
	v_lshrrev_b32_e32 v10, 7, v13
	v_mul_u32_u24_e32 v11, 0x181, v10
	v_sub_u32_e32 v11, v12, v11
	v_mad_u32_u24 v34, v10, s1, v11
	v_mad_u64_u32 v[10:11], s[4:5], s2, v34, 0
	v_add_u32_e32 v35, 0x181, v34
	v_add_co_u32_e32 v8, vcc, v0, v8
	v_mad_u64_u32 v[11:12], s[4:5], s3, v34, v[11:12]
	v_mad_u64_u32 v[12:13], s[4:5], s2, v35, 0
	v_addc_co_u32_e32 v9, vcc, v7, v9, vcc
	global_store_dwordx2 v[8:9], v[55:56], off
	v_lshlrev_b64 v[8:9], 3, v[10:11]
	v_mov_b32_e32 v10, v13
	v_mad_u64_u32 v[10:11], s[4:5], s3, v35, v[10:11]
	v_add_co_u32_e32 v8, vcc, v0, v8
	v_addc_co_u32_e32 v9, vcc, v7, v9, vcc
	v_mov_b32_e32 v13, v10
	global_store_dwordx2 v[8:9], v[62:63], off
	v_lshlrev_b64 v[8:9], 3, v[12:13]
	v_add_u32_e32 v12, 0x302, v34
	v_mad_u64_u32 v[10:11], s[4:5], s2, v12, 0
	v_add_u32_e32 v35, 0x483, v34
	v_add_co_u32_e32 v8, vcc, v0, v8
	v_mad_u64_u32 v[11:12], s[4:5], s3, v12, v[11:12]
	v_mad_u64_u32 v[12:13], s[4:5], s2, v35, 0
	v_addc_co_u32_e32 v9, vcc, v7, v9, vcc
	global_store_dwordx2 v[8:9], v[60:61], off
	v_lshlrev_b64 v[8:9], 3, v[10:11]
	v_mov_b32_e32 v10, v13
	v_mad_u64_u32 v[10:11], s[4:5], s3, v35, v[10:11]
	v_add_co_u32_e32 v8, vcc, v0, v8
	v_addc_co_u32_e32 v9, vcc, v7, v9, vcc
	v_mov_b32_e32 v13, v10
	v_add_u32_e32 v10, 0x604, v34
	global_store_dwordx2 v[8:9], v[5:6], off
	v_mad_u64_u32 v[8:9], s[4:5], s2, v10, 0
	v_lshlrev_b64 v[5:6], 3, v[12:13]
	v_mad_u64_u32 v[9:10], s[4:5], s3, v10, v[9:10]
	v_add_u32_e32 v10, 0x113, v115
	v_mul_hi_u32 v11, v10, s0
	v_add_co_u32_e32 v5, vcc, v0, v5
	v_addc_co_u32_e32 v6, vcc, v7, v6, vcc
	global_store_dwordx2 v[5:6], v[3:4], off
	v_lshrrev_b32_e32 v5, 7, v11
	v_mul_u32_u24_e32 v6, 0x181, v5
	v_sub_u32_e32 v6, v10, v6
	v_mad_u32_u24 v11, v5, s1, v6
	v_mad_u64_u32 v[5:6], s[4:5], s2, v11, 0
	v_lshlrev_b64 v[3:4], 3, v[8:9]
	v_add_u32_e32 v12, 0x181, v11
	v_mad_u64_u32 v[8:9], s[4:5], s3, v11, v[6:7]
	v_mad_u64_u32 v[9:10], s[4:5], s2, v12, 0
	v_add_co_u32_e32 v3, vcc, v0, v3
	v_addc_co_u32_e32 v4, vcc, v7, v4, vcc
	global_store_dwordx2 v[3:4], v[1:2], off
	v_mov_b32_e32 v3, v10
	v_mad_u64_u32 v[3:4], s[4:5], s3, v12, v[3:4]
	v_mov_b32_e32 v6, v8
	v_lshlrev_b64 v[1:2], 3, v[5:6]
	v_add_u32_e32 v5, 0x302, v11
	v_mov_b32_e32 v10, v3
	v_mad_u64_u32 v[3:4], s[4:5], s2, v5, 0
	v_add_co_u32_e32 v1, vcc, v0, v1
	v_addc_co_u32_e32 v2, vcc, v7, v2, vcc
	v_mad_u64_u32 v[4:5], s[4:5], s3, v5, v[4:5]
	v_add_u32_e32 v8, 0x483, v11
	global_store_dwordx2 v[1:2], v[32:33], off
	v_lshlrev_b64 v[1:2], 3, v[9:10]
	v_mad_u64_u32 v[5:6], s[4:5], s2, v8, 0
	v_add_co_u32_e32 v1, vcc, v0, v1
	v_addc_co_u32_e32 v2, vcc, v7, v2, vcc
	global_store_dwordx2 v[1:2], v[28:29], off
	v_lshlrev_b64 v[1:2], 3, v[3:4]
	v_mov_b32_e32 v3, v6
	v_mad_u64_u32 v[3:4], s[4:5], s3, v8, v[3:4]
	v_add_co_u32_e32 v1, vcc, v0, v1
	v_addc_co_u32_e32 v2, vcc, v7, v2, vcc
	v_mov_b32_e32 v6, v3
	global_store_dwordx2 v[1:2], v[30:31], off
	v_lshlrev_b64 v[1:2], 3, v[5:6]
	v_add_u32_e32 v5, 0x604, v11
	v_mad_u64_u32 v[3:4], s[4:5], s2, v5, 0
	v_add_u32_e32 v6, 0x14a, v115
	v_mul_hi_u32 v8, v6, s0
	v_mad_u64_u32 v[4:5], s[4:5], s3, v5, v[4:5]
	v_add_co_u32_e32 v1, vcc, v0, v1
	v_lshrrev_b32_e32 v5, 7, v8
	v_mul_u32_u24_e32 v8, 0x181, v5
	v_sub_u32_e32 v6, v6, v8
	v_mad_u32_u24 v8, v5, s1, v6
	v_mad_u64_u32 v[5:6], s[0:1], s2, v8, 0
	v_addc_co_u32_e32 v2, vcc, v7, v2, vcc
	global_store_dwordx2 v[1:2], v[26:27], off
	v_lshlrev_b64 v[1:2], 3, v[3:4]
	v_mov_b32_e32 v3, v6
	v_mad_u64_u32 v[3:4], s[0:1], s3, v8, v[3:4]
	v_add_co_u32_e32 v1, vcc, v0, v1
	v_addc_co_u32_e32 v2, vcc, v7, v2, vcc
	v_mov_b32_e32 v6, v3
	global_store_dwordx2 v[1:2], v[24:25], off
	v_lshlrev_b64 v[1:2], 3, v[5:6]
	v_add_u32_e32 v5, 0x181, v8
	v_mad_u64_u32 v[3:4], s[0:1], s2, v5, 0
	v_add_u32_e32 v9, 0x302, v8
	v_add_co_u32_e32 v1, vcc, v0, v1
	v_mad_u64_u32 v[4:5], s[0:1], s3, v5, v[4:5]
	v_mad_u64_u32 v[5:6], s[0:1], s2, v9, 0
	v_addc_co_u32_e32 v2, vcc, v7, v2, vcc
	global_store_dwordx2 v[1:2], v[22:23], off
	v_lshlrev_b64 v[1:2], 3, v[3:4]
	v_mov_b32_e32 v3, v6
	v_mad_u64_u32 v[3:4], s[0:1], s3, v9, v[3:4]
	v_add_co_u32_e32 v1, vcc, v0, v1
	v_addc_co_u32_e32 v2, vcc, v7, v2, vcc
	v_mov_b32_e32 v6, v3
	global_store_dwordx2 v[1:2], v[20:21], off
	v_lshlrev_b64 v[1:2], 3, v[5:6]
	v_add_u32_e32 v5, 0x483, v8
	v_mad_u64_u32 v[3:4], s[0:1], s2, v5, 0
	v_add_u32_e32 v8, 0x604, v8
	v_add_co_u32_e32 v1, vcc, v0, v1
	v_mad_u64_u32 v[4:5], s[0:1], s3, v5, v[4:5]
	v_mad_u64_u32 v[5:6], s[0:1], s2, v8, 0
	v_addc_co_u32_e32 v2, vcc, v7, v2, vcc
	global_store_dwordx2 v[1:2], v[18:19], off
	v_lshlrev_b64 v[1:2], 3, v[3:4]
	v_mov_b32_e32 v3, v6
	v_mad_u64_u32 v[3:4], s[0:1], s3, v8, v[3:4]
	v_add_co_u32_e32 v1, vcc, v0, v1
	v_addc_co_u32_e32 v2, vcc, v7, v2, vcc
	v_mov_b32_e32 v6, v3
	global_store_dwordx2 v[1:2], v[16:17], off
	v_lshlrev_b64 v[1:2], 3, v[5:6]
	v_add_co_u32_e32 v0, vcc, v0, v1
	v_addc_co_u32_e32 v1, vcc, v7, v2, vcc
	global_store_dwordx2 v[0:1], v[14:15], off
.LBB0_23:
	s_endpgm
	.section	.rodata,"a",@progbits
	.p2align	6, 0x0
	.amdhsa_kernel fft_rtc_back_len1925_factors_7_11_5_5_wgs_55_tpt_55_halfLds_sp_op_CI_CI_sbrr_dirReg
		.amdhsa_group_segment_fixed_size 0
		.amdhsa_private_segment_fixed_size 0
		.amdhsa_kernarg_size 104
		.amdhsa_user_sgpr_count 6
		.amdhsa_user_sgpr_private_segment_buffer 1
		.amdhsa_user_sgpr_dispatch_ptr 0
		.amdhsa_user_sgpr_queue_ptr 0
		.amdhsa_user_sgpr_kernarg_segment_ptr 1
		.amdhsa_user_sgpr_dispatch_id 0
		.amdhsa_user_sgpr_flat_scratch_init 0
		.amdhsa_user_sgpr_private_segment_size 0
		.amdhsa_uses_dynamic_stack 0
		.amdhsa_system_sgpr_private_segment_wavefront_offset 0
		.amdhsa_system_sgpr_workgroup_id_x 1
		.amdhsa_system_sgpr_workgroup_id_y 0
		.amdhsa_system_sgpr_workgroup_id_z 0
		.amdhsa_system_sgpr_workgroup_info 0
		.amdhsa_system_vgpr_workitem_id 0
		.amdhsa_next_free_vgpr 183
		.amdhsa_next_free_sgpr 32
		.amdhsa_reserve_vcc 1
		.amdhsa_reserve_flat_scratch 0
		.amdhsa_float_round_mode_32 0
		.amdhsa_float_round_mode_16_64 0
		.amdhsa_float_denorm_mode_32 3
		.amdhsa_float_denorm_mode_16_64 3
		.amdhsa_dx10_clamp 1
		.amdhsa_ieee_mode 1
		.amdhsa_fp16_overflow 0
		.amdhsa_exception_fp_ieee_invalid_op 0
		.amdhsa_exception_fp_denorm_src 0
		.amdhsa_exception_fp_ieee_div_zero 0
		.amdhsa_exception_fp_ieee_overflow 0
		.amdhsa_exception_fp_ieee_underflow 0
		.amdhsa_exception_fp_ieee_inexact 0
		.amdhsa_exception_int_div_zero 0
	.end_amdhsa_kernel
	.text
.Lfunc_end0:
	.size	fft_rtc_back_len1925_factors_7_11_5_5_wgs_55_tpt_55_halfLds_sp_op_CI_CI_sbrr_dirReg, .Lfunc_end0-fft_rtc_back_len1925_factors_7_11_5_5_wgs_55_tpt_55_halfLds_sp_op_CI_CI_sbrr_dirReg
                                        ; -- End function
	.section	.AMDGPU.csdata,"",@progbits
; Kernel info:
; codeLenInByte = 26876
; NumSgprs: 36
; NumVgprs: 183
; ScratchSize: 0
; MemoryBound: 0
; FloatMode: 240
; IeeeMode: 1
; LDSByteSize: 0 bytes/workgroup (compile time only)
; SGPRBlocks: 4
; VGPRBlocks: 45
; NumSGPRsForWavesPerEU: 36
; NumVGPRsForWavesPerEU: 183
; Occupancy: 1
; WaveLimiterHint : 1
; COMPUTE_PGM_RSRC2:SCRATCH_EN: 0
; COMPUTE_PGM_RSRC2:USER_SGPR: 6
; COMPUTE_PGM_RSRC2:TRAP_HANDLER: 0
; COMPUTE_PGM_RSRC2:TGID_X_EN: 1
; COMPUTE_PGM_RSRC2:TGID_Y_EN: 0
; COMPUTE_PGM_RSRC2:TGID_Z_EN: 0
; COMPUTE_PGM_RSRC2:TIDIG_COMP_CNT: 0
	.type	__hip_cuid_a4e3b62427113284,@object ; @__hip_cuid_a4e3b62427113284
	.section	.bss,"aw",@nobits
	.globl	__hip_cuid_a4e3b62427113284
__hip_cuid_a4e3b62427113284:
	.byte	0                               ; 0x0
	.size	__hip_cuid_a4e3b62427113284, 1

	.ident	"AMD clang version 19.0.0git (https://github.com/RadeonOpenCompute/llvm-project roc-6.4.0 25133 c7fe45cf4b819c5991fe208aaa96edf142730f1d)"
	.section	".note.GNU-stack","",@progbits
	.addrsig
	.addrsig_sym __hip_cuid_a4e3b62427113284
	.amdgpu_metadata
---
amdhsa.kernels:
  - .args:
      - .actual_access:  read_only
        .address_space:  global
        .offset:         0
        .size:           8
        .value_kind:     global_buffer
      - .offset:         8
        .size:           8
        .value_kind:     by_value
      - .actual_access:  read_only
        .address_space:  global
        .offset:         16
        .size:           8
        .value_kind:     global_buffer
      - .actual_access:  read_only
        .address_space:  global
        .offset:         24
        .size:           8
        .value_kind:     global_buffer
      - .actual_access:  read_only
        .address_space:  global
        .offset:         32
        .size:           8
        .value_kind:     global_buffer
      - .offset:         40
        .size:           8
        .value_kind:     by_value
      - .actual_access:  read_only
        .address_space:  global
        .offset:         48
        .size:           8
        .value_kind:     global_buffer
      - .actual_access:  read_only
        .address_space:  global
        .offset:         56
        .size:           8
        .value_kind:     global_buffer
      - .offset:         64
        .size:           4
        .value_kind:     by_value
      - .actual_access:  read_only
        .address_space:  global
        .offset:         72
        .size:           8
        .value_kind:     global_buffer
      - .actual_access:  read_only
        .address_space:  global
        .offset:         80
        .size:           8
        .value_kind:     global_buffer
      - .actual_access:  read_only
        .address_space:  global
        .offset:         88
        .size:           8
        .value_kind:     global_buffer
      - .actual_access:  write_only
        .address_space:  global
        .offset:         96
        .size:           8
        .value_kind:     global_buffer
    .group_segment_fixed_size: 0
    .kernarg_segment_align: 8
    .kernarg_segment_size: 104
    .language:       OpenCL C
    .language_version:
      - 2
      - 0
    .max_flat_workgroup_size: 55
    .name:           fft_rtc_back_len1925_factors_7_11_5_5_wgs_55_tpt_55_halfLds_sp_op_CI_CI_sbrr_dirReg
    .private_segment_fixed_size: 0
    .sgpr_count:     36
    .sgpr_spill_count: 0
    .symbol:         fft_rtc_back_len1925_factors_7_11_5_5_wgs_55_tpt_55_halfLds_sp_op_CI_CI_sbrr_dirReg.kd
    .uniform_work_group_size: 1
    .uses_dynamic_stack: false
    .vgpr_count:     183
    .vgpr_spill_count: 0
    .wavefront_size: 64
amdhsa.target:   amdgcn-amd-amdhsa--gfx906
amdhsa.version:
  - 1
  - 2
...

	.end_amdgpu_metadata
